;; amdgpu-corpus repo=ROCm/rocFFT kind=compiled arch=gfx906 opt=O3
	.text
	.amdgcn_target "amdgcn-amd-amdhsa--gfx906"
	.amdhsa_code_object_version 6
	.protected	fft_rtc_fwd_len1156_factors_17_2_17_2_wgs_204_tpt_68_halfLds_dp_ip_CI_sbrr_dirReg ; -- Begin function fft_rtc_fwd_len1156_factors_17_2_17_2_wgs_204_tpt_68_halfLds_dp_ip_CI_sbrr_dirReg
	.globl	fft_rtc_fwd_len1156_factors_17_2_17_2_wgs_204_tpt_68_halfLds_dp_ip_CI_sbrr_dirReg
	.p2align	8
	.type	fft_rtc_fwd_len1156_factors_17_2_17_2_wgs_204_tpt_68_halfLds_dp_ip_CI_sbrr_dirReg,@function
fft_rtc_fwd_len1156_factors_17_2_17_2_wgs_204_tpt_68_halfLds_dp_ip_CI_sbrr_dirReg: ; @fft_rtc_fwd_len1156_factors_17_2_17_2_wgs_204_tpt_68_halfLds_dp_ip_CI_sbrr_dirReg
; %bb.0:
	s_load_dwordx2 s[2:3], s[4:5], 0x18
	s_load_dwordx4 s[8:11], s[4:5], 0x0
	s_load_dwordx2 s[14:15], s[4:5], 0x50
	v_mul_u32_u24_e32 v1, 0x3c4, v0
	v_lshrrev_b32_e32 v1, 16, v1
	v_mad_u64_u32 v[68:69], s[0:1], s6, 3, v[1:2]
	s_waitcnt lgkmcnt(0)
	s_load_dwordx2 s[12:13], s[2:3], 0x0
	v_mov_b32_e32 v3, 0
	v_cmp_lt_u64_e64 s[0:1], s[10:11], 2
	v_mov_b32_e32 v69, v3
	v_mov_b32_e32 v1, 0
	;; [unrolled: 1-line block ×3, first 2 shown]
	s_and_b64 vcc, exec, s[0:1]
	v_mov_b32_e32 v2, 0
	v_mov_b32_e32 v8, v69
	s_cbranch_vccnz .LBB0_8
; %bb.1:
	s_load_dwordx2 s[0:1], s[4:5], 0x10
	s_add_u32 s6, s2, 8
	s_addc_u32 s7, s3, 0
	v_mov_b32_e32 v1, 0
	v_mov_b32_e32 v5, v68
	s_waitcnt lgkmcnt(0)
	s_add_u32 s18, s0, 8
	s_mov_b64 s[16:17], 1
	v_mov_b32_e32 v2, 0
	s_addc_u32 s19, s1, 0
	v_mov_b32_e32 v6, v69
.LBB0_2:                                ; =>This Inner Loop Header: Depth=1
	s_load_dwordx2 s[20:21], s[18:19], 0x0
                                        ; implicit-def: $vgpr7_vgpr8
	s_waitcnt lgkmcnt(0)
	v_or_b32_e32 v4, s21, v6
	v_cmp_ne_u64_e32 vcc, 0, v[3:4]
	s_and_saveexec_b64 s[0:1], vcc
	s_xor_b64 s[22:23], exec, s[0:1]
	s_cbranch_execz .LBB0_4
; %bb.3:                                ;   in Loop: Header=BB0_2 Depth=1
	v_cvt_f32_u32_e32 v4, s20
	v_cvt_f32_u32_e32 v7, s21
	s_sub_u32 s0, 0, s20
	s_subb_u32 s1, 0, s21
	v_mac_f32_e32 v4, 0x4f800000, v7
	v_rcp_f32_e32 v4, v4
	v_mul_f32_e32 v4, 0x5f7ffffc, v4
	v_mul_f32_e32 v7, 0x2f800000, v4
	v_trunc_f32_e32 v7, v7
	v_mac_f32_e32 v4, 0xcf800000, v7
	v_cvt_u32_f32_e32 v7, v7
	v_cvt_u32_f32_e32 v4, v4
	v_mul_lo_u32 v8, s0, v7
	v_mul_hi_u32 v9, s0, v4
	v_mul_lo_u32 v11, s1, v4
	v_mul_lo_u32 v10, s0, v4
	v_add_u32_e32 v8, v9, v8
	v_add_u32_e32 v8, v8, v11
	v_mul_hi_u32 v9, v4, v10
	v_mul_lo_u32 v11, v4, v8
	v_mul_hi_u32 v13, v4, v8
	v_mul_hi_u32 v12, v7, v10
	v_mul_lo_u32 v10, v7, v10
	v_mul_hi_u32 v14, v7, v8
	v_add_co_u32_e32 v9, vcc, v9, v11
	v_addc_co_u32_e32 v11, vcc, 0, v13, vcc
	v_mul_lo_u32 v8, v7, v8
	v_add_co_u32_e32 v9, vcc, v9, v10
	v_addc_co_u32_e32 v9, vcc, v11, v12, vcc
	v_addc_co_u32_e32 v10, vcc, 0, v14, vcc
	v_add_co_u32_e32 v8, vcc, v9, v8
	v_addc_co_u32_e32 v9, vcc, 0, v10, vcc
	v_add_co_u32_e32 v4, vcc, v4, v8
	v_addc_co_u32_e32 v7, vcc, v7, v9, vcc
	v_mul_lo_u32 v8, s0, v7
	v_mul_hi_u32 v9, s0, v4
	v_mul_lo_u32 v10, s1, v4
	v_mul_lo_u32 v11, s0, v4
	v_add_u32_e32 v8, v9, v8
	v_add_u32_e32 v8, v8, v10
	v_mul_lo_u32 v12, v4, v8
	v_mul_hi_u32 v13, v4, v11
	v_mul_hi_u32 v14, v4, v8
	;; [unrolled: 1-line block ×3, first 2 shown]
	v_mul_lo_u32 v11, v7, v11
	v_mul_hi_u32 v9, v7, v8
	v_add_co_u32_e32 v12, vcc, v13, v12
	v_addc_co_u32_e32 v13, vcc, 0, v14, vcc
	v_mul_lo_u32 v8, v7, v8
	v_add_co_u32_e32 v11, vcc, v12, v11
	v_addc_co_u32_e32 v10, vcc, v13, v10, vcc
	v_addc_co_u32_e32 v9, vcc, 0, v9, vcc
	v_add_co_u32_e32 v8, vcc, v10, v8
	v_addc_co_u32_e32 v9, vcc, 0, v9, vcc
	v_add_co_u32_e32 v4, vcc, v4, v8
	v_addc_co_u32_e32 v9, vcc, v7, v9, vcc
	v_mad_u64_u32 v[7:8], s[0:1], v5, v9, 0
	v_mul_hi_u32 v10, v5, v4
	v_add_co_u32_e32 v11, vcc, v10, v7
	v_addc_co_u32_e32 v12, vcc, 0, v8, vcc
	v_mad_u64_u32 v[7:8], s[0:1], v6, v4, 0
	v_mad_u64_u32 v[9:10], s[0:1], v6, v9, 0
	v_add_co_u32_e32 v4, vcc, v11, v7
	v_addc_co_u32_e32 v4, vcc, v12, v8, vcc
	v_addc_co_u32_e32 v7, vcc, 0, v10, vcc
	v_add_co_u32_e32 v4, vcc, v4, v9
	v_addc_co_u32_e32 v9, vcc, 0, v7, vcc
	v_mul_lo_u32 v10, s21, v4
	v_mul_lo_u32 v11, s20, v9
	v_mad_u64_u32 v[7:8], s[0:1], s20, v4, 0
	v_add3_u32 v8, v8, v11, v10
	v_sub_u32_e32 v10, v6, v8
	v_mov_b32_e32 v11, s21
	v_sub_co_u32_e32 v7, vcc, v5, v7
	v_subb_co_u32_e64 v10, s[0:1], v10, v11, vcc
	v_subrev_co_u32_e64 v11, s[0:1], s20, v7
	v_subbrev_co_u32_e64 v10, s[0:1], 0, v10, s[0:1]
	v_cmp_le_u32_e64 s[0:1], s21, v10
	v_cndmask_b32_e64 v12, 0, -1, s[0:1]
	v_cmp_le_u32_e64 s[0:1], s20, v11
	v_cndmask_b32_e64 v11, 0, -1, s[0:1]
	v_cmp_eq_u32_e64 s[0:1], s21, v10
	v_cndmask_b32_e64 v10, v12, v11, s[0:1]
	v_add_co_u32_e64 v11, s[0:1], 2, v4
	v_addc_co_u32_e64 v12, s[0:1], 0, v9, s[0:1]
	v_add_co_u32_e64 v13, s[0:1], 1, v4
	v_addc_co_u32_e64 v14, s[0:1], 0, v9, s[0:1]
	v_subb_co_u32_e32 v8, vcc, v6, v8, vcc
	v_cmp_ne_u32_e64 s[0:1], 0, v10
	v_cmp_le_u32_e32 vcc, s21, v8
	v_cndmask_b32_e64 v10, v14, v12, s[0:1]
	v_cndmask_b32_e64 v12, 0, -1, vcc
	v_cmp_le_u32_e32 vcc, s20, v7
	v_cndmask_b32_e64 v7, 0, -1, vcc
	v_cmp_eq_u32_e32 vcc, s21, v8
	v_cndmask_b32_e32 v7, v12, v7, vcc
	v_cmp_ne_u32_e32 vcc, 0, v7
	v_cndmask_b32_e64 v7, v13, v11, s[0:1]
	v_cndmask_b32_e32 v8, v9, v10, vcc
	v_cndmask_b32_e32 v7, v4, v7, vcc
.LBB0_4:                                ;   in Loop: Header=BB0_2 Depth=1
	s_andn2_saveexec_b64 s[0:1], s[22:23]
	s_cbranch_execz .LBB0_6
; %bb.5:                                ;   in Loop: Header=BB0_2 Depth=1
	v_cvt_f32_u32_e32 v4, s20
	s_sub_i32 s22, 0, s20
	v_rcp_iflag_f32_e32 v4, v4
	v_mul_f32_e32 v4, 0x4f7ffffe, v4
	v_cvt_u32_f32_e32 v4, v4
	v_mul_lo_u32 v7, s22, v4
	v_mul_hi_u32 v7, v4, v7
	v_add_u32_e32 v4, v4, v7
	v_mul_hi_u32 v4, v5, v4
	v_mul_lo_u32 v7, v4, s20
	v_add_u32_e32 v8, 1, v4
	v_sub_u32_e32 v7, v5, v7
	v_subrev_u32_e32 v9, s20, v7
	v_cmp_le_u32_e32 vcc, s20, v7
	v_cndmask_b32_e32 v7, v7, v9, vcc
	v_cndmask_b32_e32 v4, v4, v8, vcc
	v_add_u32_e32 v8, 1, v4
	v_cmp_le_u32_e32 vcc, s20, v7
	v_cndmask_b32_e32 v7, v4, v8, vcc
	v_mov_b32_e32 v8, v3
.LBB0_6:                                ;   in Loop: Header=BB0_2 Depth=1
	s_or_b64 exec, exec, s[0:1]
	v_mul_lo_u32 v4, v8, s20
	v_mul_lo_u32 v11, v7, s21
	v_mad_u64_u32 v[9:10], s[0:1], v7, s20, 0
	s_load_dwordx2 s[0:1], s[6:7], 0x0
	s_add_u32 s16, s16, 1
	v_add3_u32 v4, v10, v11, v4
	v_sub_co_u32_e32 v5, vcc, v5, v9
	v_subb_co_u32_e32 v4, vcc, v6, v4, vcc
	s_waitcnt lgkmcnt(0)
	v_mul_lo_u32 v4, s0, v4
	v_mul_lo_u32 v6, s1, v5
	v_mad_u64_u32 v[1:2], s[0:1], s0, v5, v[1:2]
	s_addc_u32 s17, s17, 0
	s_add_u32 s6, s6, 8
	v_add3_u32 v2, v6, v2, v4
	v_mov_b32_e32 v4, s10
	v_mov_b32_e32 v5, s11
	s_addc_u32 s7, s7, 0
	v_cmp_ge_u64_e32 vcc, s[16:17], v[4:5]
	s_add_u32 s18, s18, 8
	s_addc_u32 s19, s19, 0
	s_cbranch_vccnz .LBB0_8
; %bb.7:                                ;   in Loop: Header=BB0_2 Depth=1
	v_mov_b32_e32 v5, v7
	v_mov_b32_e32 v6, v8
	s_branch .LBB0_2
.LBB0_8:
	s_lshl_b64 s[0:1], s[10:11], 3
	s_add_u32 s0, s2, s0
	s_addc_u32 s1, s3, s1
	s_load_dwordx2 s[2:3], s[0:1], 0x0
	s_load_dwordx2 s[6:7], s[4:5], 0x20
                                        ; implicit-def: $vgpr89
                                        ; implicit-def: $vgpr90
                                        ; implicit-def: $vgpr91
                                        ; implicit-def: $vgpr92
                                        ; implicit-def: $vgpr93
                                        ; implicit-def: $vgpr94
                                        ; implicit-def: $vgpr85
                                        ; implicit-def: $vgpr86
	s_waitcnt lgkmcnt(0)
	v_mad_u64_u32 v[1:2], s[0:1], s2, v7, v[1:2]
	s_mov_b32 s0, 0x3c3c3c4
	v_mul_lo_u32 v3, s2, v8
	v_mul_lo_u32 v4, s3, v7
	v_mul_hi_u32 v5, v0, s0
	v_cmp_gt_u64_e32 vcc, s[6:7], v[7:8]
	v_cmp_le_u64_e64 s[0:1], s[6:7], v[7:8]
	v_add3_u32 v2, v4, v2, v3
	v_mul_u32_u24_e32 v3, 0x44, v5
	v_sub_u32_e32 v84, v0, v3
	s_and_saveexec_b64 s[2:3], s[0:1]
	s_xor_b64 s[0:1], exec, s[2:3]
; %bb.9:
	v_add_u32_e32 v89, 0x44, v84
	v_add_u32_e32 v90, 0x88, v84
	;; [unrolled: 1-line block ×8, first 2 shown]
; %bb.10:
	s_or_saveexec_b64 s[2:3], s[0:1]
	v_lshlrev_b64 v[87:88], 4, v[1:2]
                                        ; implicit-def: $vgpr46_vgpr47
                                        ; implicit-def: $vgpr50_vgpr51
                                        ; implicit-def: $vgpr42_vgpr43
                                        ; implicit-def: $vgpr38_vgpr39
                                        ; implicit-def: $vgpr30_vgpr31
                                        ; implicit-def: $vgpr22_vgpr23
                                        ; implicit-def: $vgpr14_vgpr15
                                        ; implicit-def: $vgpr6_vgpr7
                                        ; implicit-def: $vgpr2_vgpr3
                                        ; implicit-def: $vgpr10_vgpr11
                                        ; implicit-def: $vgpr18_vgpr19
                                        ; implicit-def: $vgpr26_vgpr27
                                        ; implicit-def: $vgpr34_vgpr35
                                        ; implicit-def: $vgpr58_vgpr59
                                        ; implicit-def: $vgpr62_vgpr63
                                        ; implicit-def: $vgpr66_vgpr67
                                        ; implicit-def: $vgpr54_vgpr55
	s_xor_b64 exec, exec, s[2:3]
	s_cbranch_execz .LBB0_12
; %bb.11:
	v_mad_u64_u32 v[0:1], s[0:1], s12, v84, 0
	v_add_u32_e32 v89, 0x44, v84
	v_mov_b32_e32 v4, s15
	v_mad_u64_u32 v[1:2], s[0:1], s13, v84, v[1:2]
	v_mad_u64_u32 v[2:3], s[0:1], s12, v89, 0
	v_add_co_u32_e64 v8, s[0:1], s14, v87
	v_addc_co_u32_e64 v9, s[0:1], v4, v88, s[0:1]
	v_mad_u64_u32 v[3:4], s[0:1], s13, v89, v[3:4]
	v_add_u32_e32 v90, 0x88, v84
	v_mad_u64_u32 v[4:5], s[0:1], s12, v90, 0
	v_lshlrev_b64 v[0:1], 4, v[0:1]
	v_add_u32_e32 v91, 0xcc, v84
	v_add_co_u32_e64 v44, s[0:1], v8, v0
	v_addc_co_u32_e64 v45, s[0:1], v9, v1, s[0:1]
	v_lshlrev_b64 v[0:1], 4, v[2:3]
	v_mov_b32_e32 v2, v5
	v_mad_u64_u32 v[2:3], s[0:1], s13, v90, v[2:3]
	v_mad_u64_u32 v[6:7], s[0:1], s12, v91, 0
	v_add_co_u32_e64 v46, s[0:1], v8, v0
	v_mov_b32_e32 v5, v2
	v_mov_b32_e32 v2, v7
	v_addc_co_u32_e64 v47, s[0:1], v9, v1, s[0:1]
	v_mad_u64_u32 v[2:3], s[0:1], s13, v91, v[2:3]
	v_add_u32_e32 v92, 0x110, v84
	v_lshlrev_b64 v[0:1], 4, v[4:5]
	v_mad_u64_u32 v[3:4], s[0:1], s12, v92, 0
	v_add_co_u32_e64 v48, s[0:1], v8, v0
	v_mov_b32_e32 v7, v2
	v_mov_b32_e32 v2, v4
	v_addc_co_u32_e64 v49, s[0:1], v9, v1, s[0:1]
	v_mad_u64_u32 v[4:5], s[0:1], s13, v92, v[2:3]
	v_add_u32_e32 v93, 0x154, v84
	v_lshlrev_b64 v[0:1], 4, v[6:7]
	v_mad_u64_u32 v[5:6], s[0:1], s12, v93, 0
	v_add_co_u32_e64 v50, s[0:1], v8, v0
	v_mov_b32_e32 v2, v6
	v_addc_co_u32_e64 v51, s[0:1], v9, v1, s[0:1]
	v_lshlrev_b64 v[0:1], 4, v[3:4]
	v_mad_u64_u32 v[2:3], s[0:1], s13, v93, v[2:3]
	v_add_u32_e32 v94, 0x198, v84
	v_mad_u64_u32 v[3:4], s[0:1], s12, v94, 0
	v_add_co_u32_e64 v69, s[0:1], v8, v0
	v_mov_b32_e32 v6, v2
	v_mov_b32_e32 v2, v4
	v_addc_co_u32_e64 v70, s[0:1], v9, v1, s[0:1]
	v_lshlrev_b64 v[0:1], 4, v[5:6]
	v_mad_u64_u32 v[4:5], s[0:1], s13, v94, v[2:3]
	v_add_u32_e32 v85, 0x1dc, v84
	v_mad_u64_u32 v[5:6], s[0:1], s12, v85, 0
	v_add_co_u32_e64 v71, s[0:1], v8, v0
	v_mov_b32_e32 v2, v6
	v_addc_co_u32_e64 v72, s[0:1], v9, v1, s[0:1]
	v_lshlrev_b64 v[0:1], 4, v[3:4]
	v_mad_u64_u32 v[2:3], s[0:1], s13, v85, v[2:3]
	v_add_u32_e32 v86, 0x220, v84
	v_mad_u64_u32 v[3:4], s[0:1], s12, v86, 0
	v_add_co_u32_e64 v73, s[0:1], v8, v0
	v_mov_b32_e32 v6, v2
	v_mov_b32_e32 v2, v4
	v_addc_co_u32_e64 v74, s[0:1], v9, v1, s[0:1]
	v_lshlrev_b64 v[0:1], 4, v[5:6]
	v_mad_u64_u32 v[4:5], s[0:1], s13, v86, v[2:3]
	v_add_u32_e32 v7, 0x264, v84
	;; [unrolled: 15-line block ×5, first 2 shown]
	v_mad_u64_u32 v[5:6], s[0:1], s12, v7, 0
	v_add_co_u32_e64 v99, s[0:1], v8, v0
	v_mov_b32_e32 v2, v6
	v_addc_co_u32_e64 v100, s[0:1], v9, v1, s[0:1]
	v_lshlrev_b64 v[0:1], 4, v[3:4]
	v_mad_u64_u32 v[2:3], s[0:1], s13, v7, v[2:3]
	v_add_u32_e32 v7, 0x440, v84
	v_mad_u64_u32 v[3:4], s[0:1], s12, v7, 0
	v_add_co_u32_e64 v101, s[0:1], v8, v0
	v_mov_b32_e32 v6, v2
	v_mov_b32_e32 v2, v4
	v_addc_co_u32_e64 v102, s[0:1], v9, v1, s[0:1]
	v_lshlrev_b64 v[0:1], 4, v[5:6]
	v_mad_u64_u32 v[4:5], s[0:1], s13, v7, v[2:3]
	v_add_co_u32_e64 v103, s[0:1], v8, v0
	v_addc_co_u32_e64 v104, s[0:1], v9, v1, s[0:1]
	v_lshlrev_b64 v[0:1], 4, v[3:4]
	v_add_co_u32_e64 v105, s[0:1], v8, v0
	v_addc_co_u32_e64 v106, s[0:1], v9, v1, s[0:1]
	global_load_dwordx4 v[52:55], v[44:45], off
	global_load_dwordx4 v[64:67], v[46:47], off
	;; [unrolled: 1-line block ×15, first 2 shown]
                                        ; kill: killed $vgpr73 killed $vgpr74
                                        ; kill: killed $vgpr99 killed $vgpr100
                                        ; kill: killed $vgpr101 killed $vgpr102
                                        ; kill: killed $vgpr48 killed $vgpr49
                                        ; kill: killed $vgpr71 killed $vgpr72
                                        ; kill: killed $vgpr77 killed $vgpr78
                                        ; kill: killed $vgpr46 killed $vgpr47
                                        ; kill: killed $vgpr79 killed $vgpr80
                                        ; kill: killed $vgpr69 killed $vgpr70
                                        ; kill: killed $vgpr81 killed $vgpr82
                                        ; kill: killed $vgpr75 killed $vgpr76
                                        ; kill: killed $vgpr95 killed $vgpr96
                                        ; kill: killed $vgpr44 killed $vgpr45
                                        ; kill: killed $vgpr50 killed $vgpr51
                                        ; kill: killed $vgpr97 killed $vgpr98
	global_load_dwordx4 v[48:51], v[103:104], off
	global_load_dwordx4 v[44:47], v[105:106], off
.LBB0_12:
	s_or_b64 exec, exec, s[2:3]
	s_waitcnt vmcnt(15)
	v_add_f64 v[69:70], v[64:65], v[52:53]
	s_waitcnt vmcnt(0)
	v_add_f64 v[123:124], v[44:45], v[64:65]
	s_mov_b32 s22, 0x370991
	s_mov_b32 s23, 0x3fedd6d0
	v_add_f64 v[99:100], v[66:67], -v[46:47]
	v_add_f64 v[125:126], v[48:49], v[60:61]
	s_mov_b32 s28, 0x5d8e7cdc
	s_mov_b32 s20, 0x75d4884
	v_add_f64 v[69:70], v[60:61], v[69:70]
	v_mul_f64 v[109:110], v[123:124], s[22:23]
	s_mov_b32 s29, 0x3fd71e95
	s_mov_b32 s21, 0x3fe7a5f6
	v_add_f64 v[97:98], v[62:63], -v[50:51]
	v_add_f64 v[127:128], v[40:41], v[56:57]
	v_mul_f64 v[107:108], v[125:126], s[20:21]
	s_mov_b32 s24, 0x2a9d6da3
	v_add_f64 v[69:70], v[56:57], v[69:70]
	v_fma_f64 v[103:104], v[99:100], s[28:29], v[109:110]
	s_mov_b32 s4, 0x2b2883cd
	s_mov_b32 s25, 0x3fe58eea
	;; [unrolled: 1-line block ×3, first 2 shown]
	v_add_f64 v[95:96], v[58:59], -v[42:43]
	v_add_f64 v[132:133], v[36:37], v[32:33]
	v_mul_f64 v[115:116], v[127:128], s[4:5]
	v_add_f64 v[69:70], v[32:33], v[69:70]
	v_fma_f64 v[111:112], v[97:98], s[24:25], v[107:108]
	v_add_f64 v[103:104], v[52:53], v[103:104]
	s_mov_b32 s18, 0x7c9e640b
	s_mov_b32 s2, 0x3259b75e
	s_mov_b32 s19, 0x3feca52d
	s_mov_b32 s3, 0x3fb79ee6
	v_add_f64 v[79:80], v[34:35], -v[38:39]
	v_add_f64 v[69:70], v[24:25], v[69:70]
	v_add_f64 v[134:135], v[28:29], v[24:25]
	v_mul_f64 v[117:118], v[132:133], s[2:3]
	v_fma_f64 v[119:120], v[95:96], s[18:19], v[115:116]
	v_add_f64 v[103:104], v[111:112], v[103:104]
	s_mov_b32 s10, 0xeb564b22
	s_mov_b32 s6, 0xc61f0d01
	;; [unrolled: 1-line block ×3, first 2 shown]
	v_add_f64 v[69:70], v[16:17], v[69:70]
	s_mov_b32 s7, 0xbfd183b1
	v_add_f64 v[77:78], v[26:27], -v[30:31]
	v_add_f64 v[101:102], v[20:21], v[16:17]
	v_mul_f64 v[113:114], v[134:135], s[6:7]
	v_mul_f64 v[136:137], v[123:124], s[20:21]
	v_fma_f64 v[129:130], v[79:80], s[10:11], v[117:118]
	v_add_f64 v[119:120], v[119:120], v[103:104]
	v_add_f64 v[69:70], v[8:9], v[69:70]
	s_mov_b32 s40, 0x923c349f
	s_mov_b32 s16, 0x6ed5f1bb
	;; [unrolled: 1-line block ×4, first 2 shown]
	v_add_f64 v[75:76], v[18:19], -v[22:23]
	v_add_f64 v[81:82], v[12:13], v[8:9]
	v_mul_f64 v[111:112], v[101:102], s[16:17]
	v_add_f64 v[105:106], v[0:1], v[69:70]
	v_mul_f64 v[138:139], v[125:126], s[2:3]
	v_mul_f64 v[140:141], v[123:124], s[4:5]
	v_fma_f64 v[144:145], v[77:78], s[40:41], v[113:114]
	v_fma_f64 v[146:147], v[99:100], s[24:25], v[136:137]
	v_add_f64 v[119:120], v[129:130], v[119:120]
	s_mov_b32 s34, 0x6c9a05f6
	s_mov_b32 s26, 0x910ea3b9
	v_add_f64 v[105:106], v[4:5], v[105:106]
	s_mov_b32 s35, 0x3fe9895b
	s_mov_b32 s27, 0xbfeb34fa
	v_add_f64 v[71:72], v[10:11], -v[14:15]
	v_mul_f64 v[142:143], v[125:126], s[16:17]
	v_mul_f64 v[148:149], v[127:128], s[16:17]
	v_fma_f64 v[129:130], v[75:76], s[34:35], v[111:112]
	v_fma_f64 v[152:153], v[97:98], s[10:11], v[138:139]
	v_add_f64 v[121:122], v[12:13], v[105:106]
	v_mul_f64 v[105:106], v[81:82], s[26:27]
	v_fma_f64 v[154:155], v[99:100], s[18:19], v[140:141]
	v_add_f64 v[146:147], v[52:53], v[146:147]
	v_add_f64 v[119:120], v[144:145], v[119:120]
	s_mov_b32 s44, 0x4363dd80
	s_mov_b32 s30, 0x7faef3
	;; [unrolled: 1-line block ×3, first 2 shown]
	v_add_f64 v[121:122], v[20:21], v[121:122]
	s_mov_b32 s31, 0xbfef7484
	v_add_f64 v[73:74], v[4:5], v[0:1]
	v_mul_f64 v[150:151], v[127:128], s[30:31]
	v_mul_f64 v[144:145], v[132:133], s[30:31]
	v_fma_f64 v[156:157], v[71:72], s[44:45], v[105:106]
	v_fma_f64 v[158:159], v[97:98], s[34:35], v[142:143]
	;; [unrolled: 1-line block ×3, first 2 shown]
	v_add_f64 v[121:122], v[28:29], v[121:122]
	v_add_f64 v[154:155], v[52:53], v[154:155]
	;; [unrolled: 1-line block ×4, first 2 shown]
	s_mov_b32 s54, 0xacd6c6b4
	s_mov_b32 s55, 0x3fc7851a
	;; [unrolled: 1-line block ×4, first 2 shown]
	v_add_f64 v[121:122], v[36:37], v[121:122]
	v_add_f64 v[69:70], v[2:3], -v[6:7]
	v_mul_f64 v[103:104], v[73:74], s[30:31]
	v_fma_f64 v[152:153], v[95:96], s[38:39], v[150:151]
	v_fma_f64 v[162:163], v[79:80], s[54:55], v[144:145]
	v_add_f64 v[154:155], v[158:159], v[154:155]
	v_add_f64 v[146:147], v[160:161], v[146:147]
	;; [unrolled: 1-line block ×4, first 2 shown]
	v_mul_f64 v[158:159], v[132:133], s[6:7]
	s_mov_b32 s37, 0xbfeec746
	s_mov_b32 s36, s40
	s_mov_b32 s43, 0xbfe0d888
	s_mov_b32 s42, s44
	v_fma_f64 v[129:130], v[69:70], s[54:55], v[103:104]
	v_add_f64 v[152:153], v[152:153], v[154:155]
	v_add_f64 v[156:157], v[48:49], v[121:122]
	v_mul_f64 v[121:122], v[134:135], s[26:27]
	v_add_f64 v[146:147], v[162:163], v[146:147]
	v_fma_f64 v[160:161], v[79:80], s[36:37], v[158:159]
	s_mov_b32 s0, 0xaaaaaaab
	v_mul_hi_u32 v83, v68, s0
	v_add_f64 v[154:155], v[129:130], v[119:120]
	s_movk_i32 s1, 0x88
	v_add_f64 v[156:157], v[44:45], v[156:157]
	v_fma_f64 v[162:163], v[77:78], s[42:43], v[121:122]
	v_lshrrev_b32_e32 v83, 1, v83
	v_add_f64 v[152:153], v[160:161], v[152:153]
	v_mul_f64 v[160:161], v[123:124], s[2:3]
	v_lshl_add_u32 v83, v83, 1, v83
	v_sub_u32_e32 v68, v68, v83
	v_mul_u32_u24_e32 v68, 0x484, v68
	v_lshlrev_b32_e32 v130, 3, v68
	v_add_f64 v[146:147], v[162:163], v[146:147]
	v_mul_f64 v[162:163], v[123:124], s[6:7]
	v_add_u32_e32 v68, 0, v130
	v_mad_u32_u24 v131, v84, s1, v68
	v_mul_f64 v[164:165], v[134:135], s[20:21]
	v_mul_f64 v[119:120], v[101:102], s[6:7]
	ds_write2_b64 v131, v[156:157], v[154:155] offset1:1
	v_fma_f64 v[154:155], v[99:100], s[10:11], v[160:161]
	v_mul_f64 v[156:157], v[125:126], s[30:31]
	v_fma_f64 v[172:173], v[99:100], s[40:41], v[162:163]
	v_mul_f64 v[174:175], v[125:126], s[26:27]
	s_mov_b32 s51, 0xbfe58eea
	s_mov_b32 s50, s24
	v_fma_f64 v[166:167], v[77:78], s[50:51], v[164:165]
	v_fma_f64 v[168:169], v[75:76], s[36:37], v[119:120]
	v_mul_f64 v[170:171], v[101:102], s[22:23]
	v_add_f64 v[154:155], v[52:53], v[154:155]
	v_fma_f64 v[176:177], v[97:98], s[54:55], v[156:157]
	v_add_f64 v[172:173], v[52:53], v[172:173]
	v_fma_f64 v[178:179], v[97:98], s[42:43], v[174:175]
	v_mul_f64 v[180:181], v[127:128], s[6:7]
	v_mul_f64 v[182:183], v[127:128], s[20:21]
	v_add_f64 v[152:153], v[166:167], v[152:153]
	v_add_f64 v[146:147], v[168:169], v[146:147]
	v_fma_f64 v[166:167], v[75:76], s[28:29], v[170:171]
	v_mul_f64 v[168:169], v[81:82], s[4:5]
	v_add_f64 v[154:155], v[176:177], v[154:155]
	v_add_f64 v[172:173], v[178:179], v[172:173]
	v_fma_f64 v[176:177], v[95:96], s[36:37], v[180:181]
	v_fma_f64 v[178:179], v[95:96], s[50:51], v[182:183]
	v_mul_f64 v[184:185], v[132:133], s[22:23]
	v_mul_f64 v[188:189], v[132:133], s[4:5]
	s_mov_b32 s57, 0xbfeca52d
	s_mov_b32 s56, s18
	;; [unrolled: 1-line block ×4, first 2 shown]
	v_add_f64 v[152:153], v[166:167], v[152:153]
	v_fma_f64 v[166:167], v[71:72], s[56:57], v[168:169]
	v_mul_f64 v[186:187], v[81:82], s[2:3]
	v_mul_f64 v[190:191], v[73:74], s[22:23]
	v_add_f64 v[154:155], v[176:177], v[154:155]
	v_add_f64 v[172:173], v[178:179], v[172:173]
	v_fma_f64 v[176:177], v[79:80], s[48:49], v[184:185]
	v_mul_f64 v[178:179], v[134:135], s[4:5]
	v_fma_f64 v[192:193], v[79:80], s[18:19], v[188:189]
	v_mul_f64 v[194:195], v[134:135], s[30:31]
	v_add_f64 v[146:147], v[166:167], v[146:147]
	v_fma_f64 v[166:167], v[71:72], s[10:11], v[186:187]
	v_fma_f64 v[196:197], v[69:70], s[48:49], v[190:191]
	v_mul_f64 v[198:199], v[73:74], s[26:27]
	v_add_f64 v[154:155], v[176:177], v[154:155]
	v_fma_f64 v[176:177], v[77:78], s[18:19], v[178:179]
	v_add_f64 v[172:173], v[192:193], v[172:173]
	v_fma_f64 v[192:193], v[77:78], s[54:55], v[194:195]
	v_mul_f64 v[200:201], v[101:102], s[26:27]
	v_mul_f64 v[202:203], v[123:124], s[16:17]
	v_add_f64 v[152:153], v[166:167], v[152:153]
	v_add_f64 v[146:147], v[196:197], v[146:147]
	v_fma_f64 v[166:167], v[69:70], s[44:45], v[198:199]
	v_add_f64 v[154:155], v[176:177], v[154:155]
	v_mul_f64 v[204:205], v[125:126], s[6:7]
	v_add_f64 v[172:173], v[192:193], v[172:173]
	v_fma_f64 v[192:193], v[75:76], s[44:45], v[200:201]
	v_fma_f64 v[196:197], v[99:100], s[34:35], v[202:203]
	v_mul_f64 v[206:207], v[123:124], s[26:27]
	v_mul_f64 v[176:177], v[101:102], s[2:3]
	v_add_f64 v[152:153], v[166:167], v[152:153]
	v_mul_f64 v[210:211], v[125:126], s[4:5]
	v_mul_f64 v[212:213], v[127:128], s[22:23]
	s_mov_b32 s53, 0xbfefdd0d
	v_add_f64 v[154:155], v[192:193], v[154:155]
	v_add_f64 v[166:167], v[52:53], v[196:197]
	v_fma_f64 v[192:193], v[97:98], s[36:37], v[204:205]
	v_fma_f64 v[196:197], v[99:100], s[44:45], v[206:207]
	s_mov_b32 s52, s10
	v_fma_f64 v[208:209], v[75:76], s[52:53], v[176:177]
	v_mul_f64 v[214:215], v[81:82], s[22:23]
	v_fma_f64 v[216:217], v[95:96], s[28:29], v[212:213]
	v_mul_f64 v[218:219], v[127:128], s[2:3]
	v_mul_f64 v[220:221], v[132:133], s[26:27]
	v_add_f64 v[166:167], v[192:193], v[166:167]
	v_add_f64 v[192:193], v[52:53], v[196:197]
	v_fma_f64 v[196:197], v[97:98], s[56:57], v[210:211]
	v_add_f64 v[172:173], v[208:209], v[172:173]
	v_fma_f64 v[224:225], v[71:72], s[28:29], v[214:215]
	v_mul_f64 v[228:229], v[132:133], s[16:17]
	v_mul_f64 v[230:231], v[134:135], s[2:3]
	;; [unrolled: 1-line block ×3, first 2 shown]
	v_add_f64 v[166:167], v[216:217], v[166:167]
	v_fma_f64 v[216:217], v[79:80], s[44:45], v[220:221]
	v_add_f64 v[192:193], v[196:197], v[192:193]
	v_fma_f64 v[196:197], v[95:96], s[10:11], v[218:219]
	s_mov_b32 s47, 0xbfe9895b
	s_mov_b32 s46, s34
	v_add_f64 v[172:173], v[224:225], v[172:173]
	v_mul_f64 v[224:225], v[134:135], s[22:23]
	v_mul_f64 v[232:233], v[101:102], s[20:21]
	v_add_f64 v[166:167], v[216:217], v[166:167]
	v_fma_f64 v[216:217], v[77:78], s[52:53], v[230:231]
	v_add_f64 v[192:193], v[196:197], v[192:193]
	v_fma_f64 v[196:197], v[79:80], s[46:47], v[228:229]
	v_fma_f64 v[236:237], v[99:100], s[54:55], v[123:124]
	v_mul_f64 v[125:126], v[125:126], s[22:23]
	v_fma_f64 v[123:124], v[99:100], s[38:39], v[123:124]
	v_mul_f64 v[238:239], v[101:102], s[30:31]
	v_mul_f64 v[127:128], v[127:128], s[26:27]
	v_add_f64 v[166:167], v[216:217], v[166:167]
	v_fma_f64 v[216:217], v[75:76], s[24:25], v[232:233]
	v_add_f64 v[192:193], v[196:197], v[192:193]
	v_fma_f64 v[196:197], v[77:78], s[28:29], v[224:225]
	;; [unrolled: 2-line block ×4, first 2 shown]
	v_mul_f64 v[208:209], v[81:82], s[16:17]
	v_add_f64 v[166:167], v[216:217], v[166:167]
	v_mul_f64 v[216:217], v[81:82], s[30:31]
	v_add_f64 v[192:193], v[196:197], v[192:193]
	v_fma_f64 v[196:197], v[75:76], s[54:55], v[238:239]
	v_add_f64 v[236:237], v[240:241], v[236:237]
	v_mul_f64 v[132:133], v[132:133], s[20:21]
	v_add_f64 v[123:124], v[125:126], v[123:124]
	v_fma_f64 v[125:126], v[95:96], s[44:45], v[127:128]
	v_fma_f64 v[127:128], v[95:96], s[42:43], v[127:128]
	;; [unrolled: 1-line block ×3, first 2 shown]
	v_mul_f64 v[226:227], v[73:74], s[20:21]
	v_add_f64 v[192:193], v[196:197], v[192:193]
	v_fma_f64 v[196:197], v[71:72], s[54:55], v[216:217]
	v_mul_f64 v[244:245], v[73:74], s[4:5]
	v_mul_f64 v[134:135], v[134:135], s[16:17]
	v_add_f64 v[125:126], v[125:126], v[236:237]
	v_add_f64 v[123:124], v[127:128], v[123:124]
	v_fma_f64 v[127:128], v[79:80], s[50:51], v[132:133]
	v_add_f64 v[154:155], v[222:223], v[154:155]
	v_fma_f64 v[222:223], v[69:70], s[50:51], v[226:227]
	v_fma_f64 v[132:133], v[79:80], s[24:25], v[132:133]
	v_add_f64 v[166:167], v[196:197], v[166:167]
	v_fma_f64 v[196:197], v[69:70], s[56:57], v[244:245]
	v_fma_f64 v[136:137], v[99:100], s[50:51], v[136:137]
	;; [unrolled: 1-line block ×3, first 2 shown]
	v_add_f64 v[125:126], v[127:128], v[125:126]
	v_fma_f64 v[127:128], v[77:78], s[34:35], v[134:135]
	v_fma_f64 v[156:157], v[97:98], s[38:39], v[156:157]
	v_add_f64 v[123:124], v[132:133], v[123:124]
	v_fma_f64 v[132:133], v[77:78], s[46:47], v[134:135]
	v_add_f64 v[134:135], v[222:223], v[154:155]
	;; [unrolled: 2-line block ×4, first 2 shown]
	v_fma_f64 v[127:128], v[99:100], s[52:53], v[160:161]
	v_fma_f64 v[160:161], v[99:100], s[36:37], v[162:163]
	;; [unrolled: 1-line block ×3, first 2 shown]
	v_add_f64 v[123:124], v[132:133], v[123:124]
	v_add_f64 v[132:133], v[52:53], v[154:155]
	v_fma_f64 v[154:155], v[97:98], s[40:41], v[204:205]
	v_add_f64 v[162:163], v[52:53], v[196:197]
	v_fma_f64 v[196:197], v[97:98], s[18:19], v[210:211]
	v_add_f64 v[127:128], v[52:53], v[127:128]
	v_add_f64 v[109:110], v[52:53], v[160:161]
	v_fma_f64 v[160:161], v[97:98], s[44:45], v[174:175]
	v_add_f64 v[136:137], v[52:53], v[136:137]
	v_fma_f64 v[138:139], v[97:98], s[52:53], v[138:139]
	;; [unrolled: 2-line block ×3, first 2 shown]
	v_fma_f64 v[97:98], v[97:98], s[50:51], v[107:108]
	v_add_f64 v[52:53], v[52:53], v[99:100]
	v_mul_f64 v[99:100], v[101:102], s[4:5]
	v_add_f64 v[101:102], v[154:155], v[132:133]
	v_add_f64 v[107:108], v[196:197], v[162:163]
	;; [unrolled: 1-line block ×7, first 2 shown]
	v_fma_f64 v[97:98], v[75:76], s[56:57], v[99:100]
	v_fma_f64 v[138:139], v[95:96], s[48:49], v[212:213]
	;; [unrolled: 1-line block ×8, first 2 shown]
	v_mul_f64 v[242:243], v[81:82], s[20:21]
	v_add_f64 v[97:98], v[97:98], v[125:126]
	v_add_f64 v[101:102], v[138:139], v[101:102]
	v_add_f64 v[107:108], v[140:141], v[107:108]
	v_add_f64 v[115:116], v[142:143], v[127:128]
	v_add_f64 v[109:110], v[154:155], v[109:110]
	v_add_f64 v[125:126], v[148:149], v[132:133]
	v_add_f64 v[127:128], v[150:151], v[136:137]
	v_add_f64 v[52:53], v[95:96], v[52:53]
	v_fma_f64 v[95:96], v[75:76], s[18:19], v[99:100]
	v_fma_f64 v[99:100], v[79:80], s[42:43], v[220:221]
	;; [unrolled: 1-line block ×8, first 2 shown]
	v_mul_f64 v[81:82], v[81:82], s[6:7]
	v_add_f64 v[95:96], v[95:96], v[123:124]
	v_add_f64 v[99:100], v[99:100], v[101:102]
	;; [unrolled: 1-line block ×8, first 2 shown]
	v_fma_f64 v[79:80], v[71:72], s[40:41], v[81:82]
	v_fma_f64 v[123:124], v[77:78], s[10:11], v[230:231]
	v_fma_f64 v[125:126], v[77:78], s[48:49], v[224:225]
	v_fma_f64 v[127:128], v[77:78], s[56:57], v[178:179]
	v_fma_f64 v[132:133], v[77:78], s[38:39], v[194:195]
	v_fma_f64 v[121:122], v[77:78], s[44:45], v[121:122]
	v_fma_f64 v[136:137], v[77:78], s[24:25], v[164:165]
	v_fma_f64 v[77:78], v[77:78], s[36:37], v[113:114]
	v_add_f64 v[79:80], v[79:80], v[97:98]
	v_add_f64 v[97:98], v[123:124], v[99:100]
	;; [unrolled: 1-line block ×8, first 2 shown]
	v_fma_f64 v[77:78], v[71:72], s[36:37], v[81:82]
	v_fma_f64 v[81:82], v[75:76], s[50:51], v[232:233]
	;; [unrolled: 1-line block ×8, first 2 shown]
	v_mul_f64 v[234:235], v[73:74], s[16:17]
	v_mul_f64 v[246:247], v[73:74], s[6:7]
	;; [unrolled: 1-line block ×3, first 2 shown]
	v_fma_f64 v[240:241], v[71:72], s[50:51], v[242:243]
	v_add_f64 v[77:78], v[77:78], v[95:96]
	v_add_f64 v[81:82], v[81:82], v[97:98]
	;; [unrolled: 1-line block ×8, first 2 shown]
	v_fma_f64 v[109:110], v[71:72], s[38:39], v[216:217]
	v_fma_f64 v[111:112], v[71:72], s[24:25], v[242:243]
	v_fma_f64 v[113:114], v[71:72], s[34:35], v[208:209]
	v_fma_f64 v[115:116], v[71:72], s[48:49], v[214:215]
	v_fma_f64 v[117:118], v[71:72], s[18:19], v[168:169]
	v_fma_f64 v[119:120], v[71:72], s[52:53], v[186:187]
	v_fma_f64 v[71:72], v[71:72], s[42:43], v[105:106]
	v_fma_f64 v[75:76], v[69:70], s[52:53], v[73:74]
	v_fma_f64 v[236:237], v[69:70], s[34:35], v[234:235]
	v_add_f64 v[192:193], v[240:241], v[192:193]
	v_fma_f64 v[240:241], v[69:70], s[40:41], v[246:247]
	v_fma_f64 v[105:106], v[69:70], s[36:37], v[246:247]
	v_lshl_add_u32 v124, v89, 3, v68
	v_lshl_add_u32 v125, v90, 3, v68
	v_add_f64 v[52:53], v[71:72], v[52:53]
	v_fma_f64 v[71:72], v[69:70], s[10:11], v[73:74]
	v_add_f64 v[75:76], v[75:76], v[79:80]
	v_add_f64 v[79:80], v[109:110], v[81:82]
	;; [unrolled: 1-line block ×3, first 2 shown]
	v_fma_f64 v[73:74], v[69:70], s[18:19], v[244:245]
	v_add_f64 v[95:96], v[113:114], v[97:98]
	v_add_f64 v[97:98], v[115:116], v[99:100]
	;; [unrolled: 1-line block ×4, first 2 shown]
	v_fma_f64 v[107:108], v[69:70], s[24:25], v[226:227]
	v_fma_f64 v[109:110], v[69:70], s[46:47], v[234:235]
	;; [unrolled: 1-line block ×5, first 2 shown]
	v_add_f64 v[172:173], v[236:237], v[172:173]
	v_add_f64 v[192:193], v[240:241], v[192:193]
	;; [unrolled: 1-line block ×10, first 2 shown]
	v_lshlrev_b32_e32 v52, 3, v84
	v_add_u32_e32 v122, v68, v52
	v_add3_u32 v121, 0, v52, v130
	ds_write2_b64 v131, v[146:147], v[152:153] offset0:2 offset1:3
	ds_write2_b64 v131, v[134:135], v[172:173] offset0:4 offset1:5
	;; [unrolled: 1-line block ×7, first 2 shown]
	ds_write_b64 v131, v[95:96] offset:128
	s_waitcnt lgkmcnt(0)
	s_barrier
	v_lshl_add_u32 v128, v91, 3, v68
	v_lshl_add_u32 v123, v92, 3, v68
	;; [unrolled: 1-line block ×5, first 2 shown]
	v_add_u32_e32 v116, 0x1000, v121
	v_add_u32_e32 v115, 0x1400, v121
	;; [unrolled: 1-line block ×4, first 2 shown]
	ds_read_b64 v[99:100], v122
	ds_read_b64 v[101:102], v124
	;; [unrolled: 1-line block ×8, first 2 shown]
	ds_read2_b64 v[80:83], v116 offset0:66 offset1:134
	ds_read2_b64 v[76:79], v115 offset0:74 offset1:142
	;; [unrolled: 1-line block ×4, first 2 shown]
	v_cmp_gt_u32_e64 s[0:1], 34, v84
	v_lshlrev_b32_e32 v132, 3, v86
                                        ; implicit-def: $vgpr97_vgpr98
	s_and_saveexec_b64 s[58:59], s[0:1]
	s_cbranch_execz .LBB0_14
; %bb.13:
	v_add3_u32 v95, 0, v132, v130
	ds_read_b64 v[95:96], v95
	ds_read_b64 v[97:98], v121 offset:8976
.LBB0_14:
	s_or_b64 exec, exec, s[58:59]
	v_add_f64 v[117:118], v[66:67], v[54:55]
	v_add_f64 v[40:41], v[56:57], -v[40:41]
	v_add_f64 v[44:45], v[64:65], -v[44:45]
	v_add_f64 v[64:65], v[46:47], v[66:67]
	v_add_f64 v[66:67], v[50:51], v[62:63]
	v_add_f64 v[48:49], v[60:61], -v[48:49]
	v_add_f64 v[60:61], v[42:43], v[58:59]
	v_add_f64 v[32:33], v[32:33], -v[36:37]
	v_add_f64 v[56:57], v[62:63], v[117:118]
	v_mul_f64 v[153:154], v[40:41], s[56:57]
	v_mul_f64 v[62:63], v[44:45], s[48:49]
	;; [unrolled: 1-line block ×7, first 2 shown]
	v_add_f64 v[56:57], v[58:59], v[56:57]
	v_mul_f64 v[139:140], v[44:45], s[42:43]
	v_mul_f64 v[44:45], v[44:45], s[38:39]
	v_fma_f64 v[163:164], v[64:65], s[22:23], v[62:63]
	v_fma_f64 v[62:63], v[64:65], s[22:23], -v[62:63]
	v_fma_f64 v[165:166], v[64:65], s[20:21], v[117:118]
	v_fma_f64 v[117:118], v[64:65], s[20:21], -v[117:118]
	v_fma_f64 v[167:168], v[64:65], s[4:5], v[119:120]
	v_add_f64 v[56:57], v[34:35], v[56:57]
	v_fma_f64 v[119:120], v[64:65], s[4:5], -v[119:120]
	v_fma_f64 v[169:170], v[64:65], s[2:3], v[133:134]
	v_fma_f64 v[133:134], v[64:65], s[2:3], -v[133:134]
	v_fma_f64 v[171:172], v[64:65], s[6:7], v[135:136]
	v_fma_f64 v[135:136], v[64:65], s[6:7], -v[135:136]
	v_fma_f64 v[173:174], v[64:65], s[16:17], v[137:138]
	v_fma_f64 v[137:138], v[64:65], s[16:17], -v[137:138]
	v_add_f64 v[56:57], v[26:27], v[56:57]
	v_fma_f64 v[175:176], v[64:65], s[26:27], v[139:140]
	v_fma_f64 v[139:140], v[64:65], s[26:27], -v[139:140]
	v_fma_f64 v[177:178], v[64:65], s[30:31], v[44:45]
	v_fma_f64 v[44:45], v[64:65], s[30:31], -v[44:45]
	v_mul_f64 v[58:59], v[48:49], s[50:51]
	v_mul_f64 v[141:142], v[48:49], s[52:53]
	;; [unrolled: 1-line block ×3, first 2 shown]
	v_add_f64 v[56:57], v[18:19], v[56:57]
	v_mul_f64 v[145:146], v[48:49], s[38:39]
	v_add_f64 v[163:164], v[54:55], v[163:164]
	v_add_f64 v[62:63], v[54:55], v[62:63]
	;; [unrolled: 1-line block ×18, first 2 shown]
	v_mul_f64 v[147:148], v[48:49], s[44:45]
	v_mul_f64 v[149:150], v[48:49], s[40:41]
	;; [unrolled: 1-line block ×4, first 2 shown]
	v_add_f64 v[56:57], v[6:7], v[56:57]
	v_mul_f64 v[155:156], v[40:41], s[46:47]
	v_mul_f64 v[157:158], v[40:41], s[54:55]
	;; [unrolled: 1-line block ×3, first 2 shown]
	v_fma_f64 v[64:65], v[66:67], s[20:21], v[58:59]
	v_fma_f64 v[58:59], v[66:67], s[20:21], -v[58:59]
	v_fma_f64 v[179:180], v[66:67], s[2:3], v[141:142]
	v_fma_f64 v[141:142], v[66:67], s[2:3], -v[141:142]
	v_add_f64 v[56:57], v[14:15], v[56:57]
	v_fma_f64 v[181:182], v[66:67], s[16:17], v[143:144]
	v_fma_f64 v[143:144], v[66:67], s[16:17], -v[143:144]
	v_fma_f64 v[183:184], v[66:67], s[30:31], v[145:146]
	v_mul_f64 v[161:162], v[40:41], s[24:25]
	v_fma_f64 v[145:146], v[66:67], s[30:31], -v[145:146]
	v_fma_f64 v[185:186], v[66:67], s[26:27], v[147:148]
	v_fma_f64 v[147:148], v[66:67], s[26:27], -v[147:148]
	v_add_f64 v[56:57], v[22:23], v[56:57]
	v_fma_f64 v[187:188], v[66:67], s[6:7], v[149:150]
	v_fma_f64 v[149:150], v[66:67], s[6:7], -v[149:150]
	v_fma_f64 v[189:190], v[66:67], s[4:5], v[151:152]
	v_fma_f64 v[151:152], v[66:67], s[4:5], -v[151:152]
	;; [unrolled: 2-line block ×3, first 2 shown]
	v_fma_f64 v[66:67], v[60:61], s[4:5], v[153:154]
	v_add_f64 v[56:57], v[30:31], v[56:57]
	v_fma_f64 v[153:154], v[60:61], s[4:5], -v[153:154]
	v_fma_f64 v[193:194], v[60:61], s[16:17], v[155:156]
	v_fma_f64 v[155:156], v[60:61], s[16:17], -v[155:156]
	v_fma_f64 v[195:196], v[60:61], s[30:31], v[157:158]
	;; [unrolled: 2-line block ×3, first 2 shown]
	v_add_f64 v[58:59], v[58:59], v[62:63]
	v_add_f64 v[54:55], v[38:39], v[56:57]
	;; [unrolled: 1-line block ×16, first 2 shown]
	v_mul_f64 v[66:67], v[40:41], s[48:49]
	v_add_f64 v[42:43], v[50:51], v[42:43]
	v_fma_f64 v[117:118], v[60:61], s[20:21], -v[161:162]
	v_add_f64 v[143:144], v[187:188], v[173:174]
	v_add_f64 v[137:138], v[149:150], v[137:138]
	;; [unrolled: 1-line block ×3, first 2 shown]
	v_mul_f64 v[36:37], v[40:41], s[42:43]
	v_add_f64 v[34:35], v[38:39], v[34:35]
	v_mul_f64 v[38:39], v[32:33], s[52:53]
	v_add_f64 v[42:43], v[46:47], v[42:43]
	v_add_f64 v[46:47], v[157:158], v[119:120]
	;; [unrolled: 1-line block ×3, first 2 shown]
	v_mul_f64 v[141:142], v[40:41], s[52:53]
	v_fma_f64 v[40:41], v[60:61], s[22:23], v[66:67]
	v_add_f64 v[117:118], v[117:118], v[135:136]
	v_fma_f64 v[66:67], v[60:61], s[22:23], -v[66:67]
	v_fma_f64 v[159:160], v[60:61], s[6:7], -v[159:160]
	v_fma_f64 v[199:200], v[60:61], s[20:21], v[161:162]
	v_add_f64 v[54:55], v[145:146], v[133:134]
	v_add_f64 v[145:146], v[189:190], v[175:176]
	v_fma_f64 v[135:136], v[60:61], s[2:3], v[141:142]
	v_fma_f64 v[141:142], v[60:61], s[2:3], -v[141:142]
	v_fma_f64 v[147:148], v[60:61], s[26:27], v[36:37]
	v_add_f64 v[40:41], v[40:41], v[143:144]
	v_fma_f64 v[36:37], v[60:61], s[26:27], -v[36:37]
	v_add_f64 v[60:61], v[66:67], v[137:138]
	v_mul_f64 v[66:67], v[32:33], s[38:39]
	v_mul_f64 v[143:144], v[32:33], s[28:29]
	v_add_f64 v[133:134], v[185:186], v[171:172]
	v_add_f64 v[137:138], v[141:142], v[139:140]
	v_fma_f64 v[139:140], v[34:35], s[2:3], v[38:39]
	v_mul_f64 v[141:142], v[32:33], s[40:41]
	v_fma_f64 v[38:39], v[34:35], s[2:3], -v[38:39]
	v_add_f64 v[135:136], v[135:136], v[145:146]
	v_add_f64 v[36:37], v[36:37], v[44:45]
	v_fma_f64 v[44:45], v[34:35], s[30:31], v[66:67]
	v_fma_f64 v[66:67], v[34:35], s[30:31], -v[66:67]
	v_add_f64 v[54:55], v[159:160], v[54:55]
	v_add_f64 v[48:49], v[139:140], v[48:49]
	v_mul_f64 v[139:140], v[32:33], s[56:57]
	v_fma_f64 v[145:146], v[34:35], s[6:7], v[141:142]
	v_fma_f64 v[141:142], v[34:35], s[6:7], -v[141:142]
	v_add_f64 v[38:39], v[38:39], v[56:57]
	v_fma_f64 v[56:57], v[34:35], s[22:23], v[143:144]
	v_add_f64 v[133:134], v[199:200], v[133:134]
	v_add_f64 v[44:45], v[44:45], v[58:59]
	;; [unrolled: 1-line block ×3, first 2 shown]
	v_fma_f64 v[62:63], v[34:35], s[22:23], -v[143:144]
	v_fma_f64 v[66:67], v[34:35], s[4:5], v[139:140]
	v_add_f64 v[46:47], v[141:142], v[46:47]
	v_mul_f64 v[141:142], v[32:33], s[42:43]
	v_fma_f64 v[139:140], v[34:35], s[4:5], -v[139:140]
	v_add_f64 v[56:57], v[56:57], v[119:120]
	v_mul_f64 v[119:120], v[32:33], s[34:35]
	v_add_f64 v[24:25], v[24:25], -v[28:29]
	v_add_f64 v[54:55], v[62:63], v[54:55]
	v_add_f64 v[62:63], v[66:67], v[133:134]
	v_mul_f64 v[28:29], v[32:33], s[24:25]
	v_fma_f64 v[32:33], v[34:35], s[26:27], v[141:142]
	v_add_f64 v[66:67], v[139:140], v[117:118]
	v_fma_f64 v[117:118], v[34:35], s[26:27], -v[141:142]
	v_fma_f64 v[133:134], v[34:35], s[16:17], v[119:120]
	v_fma_f64 v[119:120], v[34:35], s[16:17], -v[119:120]
	v_add_f64 v[26:27], v[30:31], v[26:27]
	v_mul_f64 v[30:31], v[24:25], s[36:37]
	v_fma_f64 v[139:140], v[34:35], s[20:21], v[28:29]
	v_add_f64 v[32:33], v[32:33], v[40:41]
	v_fma_f64 v[28:29], v[34:35], s[20:21], -v[28:29]
	v_add_f64 v[34:35], v[117:118], v[60:61]
	v_mul_f64 v[40:41], v[24:25], s[44:45]
	v_add_f64 v[60:61], v[133:134], v[135:136]
	v_add_f64 v[117:118], v[119:120], v[137:138]
	v_fma_f64 v[119:120], v[26:27], s[6:7], v[30:31]
	v_mul_f64 v[133:134], v[24:25], s[24:25]
	v_fma_f64 v[30:31], v[26:27], s[6:7], -v[30:31]
	v_mul_f64 v[135:136], v[24:25], s[56:57]
	v_add_f64 v[28:29], v[28:29], v[36:37]
	v_fma_f64 v[36:37], v[26:27], s[26:27], v[40:41]
	v_fma_f64 v[40:41], v[26:27], s[26:27], -v[40:41]
	v_add_f64 v[16:17], v[16:17], -v[20:21]
	v_add_f64 v[48:49], v[119:120], v[48:49]
	v_mul_f64 v[119:120], v[24:25], s[38:39]
	v_fma_f64 v[137:138], v[26:27], s[20:21], v[133:134]
	v_fma_f64 v[133:134], v[26:27], s[20:21], -v[133:134]
	v_add_f64 v[30:31], v[30:31], v[38:39]
	v_fma_f64 v[38:39], v[26:27], s[4:5], v[135:136]
	v_add_f64 v[36:37], v[36:37], v[44:45]
	v_add_f64 v[40:41], v[40:41], v[58:59]
	v_fma_f64 v[44:45], v[26:27], s[4:5], -v[135:136]
	v_fma_f64 v[58:59], v[26:27], s[30:31], v[119:120]
	v_fma_f64 v[119:120], v[26:27], s[30:31], -v[119:120]
	v_add_f64 v[46:47], v[133:134], v[46:47]
	v_mul_f64 v[133:134], v[24:25], s[10:11]
	v_add_f64 v[38:39], v[38:39], v[56:57]
	v_mul_f64 v[56:57], v[24:25], s[48:49]
	v_mul_f64 v[20:21], v[24:25], s[46:47]
	v_add_f64 v[44:45], v[44:45], v[54:55]
	v_add_f64 v[54:55], v[58:59], v[62:63]
	;; [unrolled: 1-line block ×4, first 2 shown]
	v_fma_f64 v[24:25], v[26:27], s[2:3], v[133:134]
	v_fma_f64 v[62:63], v[26:27], s[2:3], -v[133:134]
	v_fma_f64 v[66:67], v[26:27], s[22:23], v[56:57]
	v_mul_f64 v[22:23], v[16:17], s[46:47]
	v_fma_f64 v[119:120], v[26:27], s[16:17], v[20:21]
	v_fma_f64 v[20:21], v[26:27], s[16:17], -v[20:21]
	v_fma_f64 v[56:57], v[26:27], s[22:23], -v[56:57]
	v_add_f64 v[8:9], v[8:9], -v[12:13]
	v_add_f64 v[24:25], v[24:25], v[32:33]
	v_add_f64 v[26:27], v[62:63], v[34:35]
	;; [unrolled: 1-line block ×3, first 2 shown]
	v_mul_f64 v[34:35], v[16:17], s[40:41]
	v_fma_f64 v[60:61], v[18:19], s[16:17], v[22:23]
	v_mul_f64 v[62:63], v[16:17], s[48:49]
	v_add_f64 v[20:21], v[20:21], v[28:29]
	v_fma_f64 v[22:23], v[18:19], s[16:17], -v[22:23]
	v_mul_f64 v[28:29], v[16:17], s[42:43]
	v_add_f64 v[56:57], v[56:57], v[117:118]
	v_add_f64 v[64:65], v[145:146], v[64:65]
	v_fma_f64 v[66:67], v[18:19], s[6:7], v[34:35]
	v_fma_f64 v[34:35], v[18:19], s[6:7], -v[34:35]
	v_add_f64 v[48:49], v[60:61], v[48:49]
	v_mul_f64 v[60:61], v[16:17], s[10:11]
	v_fma_f64 v[117:118], v[18:19], s[22:23], v[62:63]
	v_fma_f64 v[62:63], v[18:19], s[22:23], -v[62:63]
	v_add_f64 v[22:23], v[22:23], v[30:31]
	v_fma_f64 v[30:31], v[18:19], s[26:27], v[28:29]
	v_fma_f64 v[28:29], v[18:19], s[26:27], -v[28:29]
	v_add_f64 v[34:35], v[34:35], v[40:41]
	v_mul_f64 v[12:13], v[16:17], s[18:19]
	v_fma_f64 v[40:41], v[18:19], s[2:3], v[60:61]
	v_add_f64 v[10:11], v[14:15], v[10:11]
	v_add_f64 v[46:47], v[62:63], v[46:47]
	v_mul_f64 v[62:63], v[16:17], s[50:51]
	v_add_f64 v[30:31], v[30:31], v[38:39]
	v_fma_f64 v[38:39], v[18:19], s[2:3], -v[60:61]
	v_mul_f64 v[60:61], v[16:17], s[38:39]
	v_add_f64 v[28:29], v[28:29], v[44:45]
	v_add_f64 v[40:41], v[40:41], v[54:55]
	v_mul_f64 v[14:15], v[8:9], s[42:43]
	v_add_f64 v[64:65], v[137:138], v[64:65]
	v_fma_f64 v[16:17], v[18:19], s[20:21], v[62:63]
	v_fma_f64 v[44:45], v[18:19], s[20:21], -v[62:63]
	v_add_f64 v[38:39], v[38:39], v[58:59]
	v_fma_f64 v[54:55], v[18:19], s[30:31], v[60:61]
	v_fma_f64 v[58:59], v[18:19], s[30:31], -v[60:61]
	v_fma_f64 v[60:61], v[18:19], s[4:5], v[12:13]
	v_fma_f64 v[12:13], v[18:19], s[4:5], -v[12:13]
	v_add_f64 v[36:37], v[66:67], v[36:37]
	v_add_f64 v[16:17], v[16:17], v[24:25]
	;; [unrolled: 1-line block ×3, first 2 shown]
	v_mul_f64 v[26:27], v[8:9], s[18:19]
	v_add_f64 v[18:19], v[54:55], v[32:33]
	v_fma_f64 v[44:45], v[10:11], s[26:27], v[14:15]
	v_mul_f64 v[54:55], v[8:9], s[52:53]
	v_fma_f64 v[14:15], v[10:11], s[26:27], -v[14:15]
	v_add_f64 v[64:65], v[117:118], v[64:65]
	v_add_f64 v[32:33], v[58:59], v[56:57]
	;; [unrolled: 1-line block ×3, first 2 shown]
	v_mul_f64 v[20:21], v[8:9], s[34:35]
	v_fma_f64 v[56:57], v[10:11], s[4:5], v[26:27]
	v_fma_f64 v[26:27], v[10:11], s[4:5], -v[26:27]
	v_add_f64 v[44:45], v[44:45], v[48:49]
	v_mul_f64 v[48:49], v[8:9], s[48:49]
	v_fma_f64 v[58:59], v[10:11], s[2:3], v[54:55]
	v_add_f64 v[14:15], v[14:15], v[22:23]
	v_fma_f64 v[22:23], v[10:11], s[2:3], -v[54:55]
	v_fma_f64 v[54:55], v[10:11], s[16:17], v[20:21]
	v_add_f64 v[36:37], v[56:57], v[36:37]
	v_add_f64 v[26:27], v[26:27], v[34:35]
	v_fma_f64 v[20:21], v[10:11], s[16:17], -v[20:21]
	v_fma_f64 v[34:35], v[10:11], s[22:23], v[48:49]
	v_add_f64 v[56:57], v[58:59], v[64:65]
	v_mul_f64 v[58:59], v[8:9], s[38:39]
	v_add_f64 v[22:23], v[22:23], v[46:47]
	v_fma_f64 v[46:47], v[10:11], s[22:23], -v[48:49]
	v_mul_f64 v[48:49], v[8:9], s[24:25]
	v_add_f64 v[0:1], v[0:1], -v[4:5]
	v_add_f64 v[50:51], v[191:192], v[177:178]
	v_add_f64 v[20:21], v[20:21], v[28:29]
	;; [unrolled: 1-line block ×3, first 2 shown]
	v_fma_f64 v[4:5], v[10:11], s[30:31], v[58:59]
	v_fma_f64 v[34:35], v[10:11], s[30:31], -v[58:59]
	v_mul_f64 v[8:9], v[8:9], s[36:37]
	v_fma_f64 v[40:41], v[10:11], s[20:21], v[48:49]
	v_add_f64 v[2:3], v[6:7], v[2:3]
	v_mul_f64 v[6:7], v[0:1], s[38:39]
	v_add_f64 v[50:51], v[147:148], v[50:51]
	v_add_f64 v[38:39], v[46:47], v[38:39]
	v_fma_f64 v[46:47], v[10:11], s[20:21], -v[48:49]
	v_add_f64 v[4:5], v[4:5], v[16:17]
	v_add_f64 v[16:17], v[34:35], v[24:25]
	v_mul_f64 v[34:35], v[0:1], s[28:29]
	v_fma_f64 v[24:25], v[10:11], s[6:7], v[8:9]
	v_add_f64 v[18:19], v[40:41], v[18:19]
	v_fma_f64 v[8:9], v[10:11], s[6:7], -v[8:9]
	v_fma_f64 v[10:11], v[2:3], s[30:31], v[6:7]
	v_mul_f64 v[40:41], v[0:1], s[42:43]
	v_fma_f64 v[6:7], v[2:3], s[30:31], -v[6:7]
	v_add_f64 v[50:51], v[139:140], v[50:51]
	v_add_f64 v[32:33], v[46:47], v[32:33]
	v_fma_f64 v[46:47], v[2:3], s[22:23], v[34:35]
	v_mul_f64 v[48:49], v[0:1], s[24:25]
	v_fma_f64 v[34:35], v[2:3], s[22:23], -v[34:35]
	v_add_f64 v[30:31], v[54:55], v[30:31]
	v_add_f64 v[8:9], v[8:9], v[12:13]
	;; [unrolled: 1-line block ×3, first 2 shown]
	v_fma_f64 v[6:7], v[2:3], s[26:27], -v[40:41]
	v_add_f64 v[50:51], v[119:120], v[50:51]
	v_fma_f64 v[12:13], v[2:3], s[26:27], v[40:41]
	v_mul_f64 v[40:41], v[0:1], s[46:47]
	v_add_f64 v[26:27], v[34:35], v[26:27]
	v_fma_f64 v[34:35], v[2:3], s[20:21], -v[48:49]
	v_add_f64 v[10:11], v[10:11], v[44:45]
	v_add_f64 v[14:15], v[46:47], v[36:37]
	v_fma_f64 v[36:37], v[2:3], s[20:21], v[48:49]
	v_mul_f64 v[44:45], v[0:1], s[18:19]
	v_add_f64 v[6:7], v[6:7], v[22:23]
	v_mul_f64 v[22:23], v[0:1], s[36:37]
	v_add_f64 v[50:51], v[60:61], v[50:51]
	;; [unrolled: 2-line block ×3, first 2 shown]
	v_fma_f64 v[34:35], v[2:3], s[16:17], v[40:41]
	v_add_f64 v[30:31], v[36:37], v[30:31]
	v_fma_f64 v[36:37], v[2:3], s[16:17], -v[40:41]
	v_fma_f64 v[40:41], v[2:3], s[4:5], v[44:45]
	v_fma_f64 v[46:47], v[2:3], s[6:7], v[22:23]
	v_add_f64 v[24:25], v[24:25], v[50:51]
	v_fma_f64 v[48:49], v[2:3], s[2:3], v[0:1]
	v_fma_f64 v[0:1], v[2:3], s[2:3], -v[0:1]
	v_fma_f64 v[44:45], v[2:3], s[4:5], -v[44:45]
	;; [unrolled: 1-line block ×3, first 2 shown]
	v_add_f64 v[12:13], v[12:13], v[56:57]
	v_add_f64 v[2:3], v[34:35], v[28:29]
	;; [unrolled: 1-line block ×9, first 2 shown]
	s_waitcnt lgkmcnt(0)
	s_barrier
	ds_write2_b64 v131, v[42:43], v[10:11] offset1:1
	ds_write2_b64 v131, v[14:15], v[12:13] offset0:2 offset1:3
	ds_write2_b64 v131, v[30:31], v[2:3] offset0:4 offset1:5
	;; [unrolled: 1-line block ×7, first 2 shown]
	ds_write_b64 v131, v[54:55] offset:128
	s_waitcnt lgkmcnt(0)
	s_barrier
	ds_read2_b64 v[0:3], v116 offset0:66 offset1:134
	ds_read2_b64 v[4:7], v115 offset0:74 offset1:142
	ds_read_b64 v[56:57], v122
	ds_read_b64 v[58:59], v124
	;; [unrolled: 1-line block ×4, first 2 shown]
	ds_read2_b64 v[8:11], v53 offset0:82 offset1:150
	ds_read2_b64 v[12:15], v52 offset0:90 offset1:158
	ds_read_b64 v[64:65], v123
	ds_read_b64 v[66:67], v126
	;; [unrolled: 1-line block ×4, first 2 shown]
                                        ; implicit-def: $vgpr119_vgpr120
	s_and_saveexec_b64 s[2:3], s[0:1]
	s_cbranch_execz .LBB0_16
; %bb.15:
	v_add3_u32 v16, 0, v132, v130
	ds_read_b64 v[54:55], v16
	ds_read_b64 v[119:120], v121 offset:8976
.LBB0_16:
	s_or_b64 exec, exec, s[2:3]
	s_movk_i32 s2, 0xf1
	v_mul_lo_u16_sdwa v16, v84, s2 dst_sel:DWORD dst_unused:UNUSED_PAD src0_sel:BYTE_0 src1_sel:DWORD
	v_lshrrev_b16_e32 v52, 12, v16
	v_mul_lo_u16_e32 v16, 17, v52
	v_sub_u16_e32 v53, v84, v16
	v_mul_lo_u16_sdwa v16, v89, s2 dst_sel:DWORD dst_unused:UNUSED_PAD src0_sel:BYTE_0 src1_sel:DWORD
	v_lshrrev_b16_e32 v131, 12, v16
	v_mov_b32_e32 v24, 4
	v_mul_lo_u16_e32 v16, 17, v131
	v_lshlrev_b32_sdwa v25, v24, v53 dst_sel:DWORD dst_unused:UNUSED_PAD src0_sel:DWORD src1_sel:BYTE_0
	v_sub_u16_e32 v133, v89, v16
	v_lshlrev_b32_sdwa v26, v24, v133 dst_sel:DWORD dst_unused:UNUSED_PAD src0_sel:DWORD src1_sel:BYTE_0
	global_load_dwordx4 v[20:23], v25, s[8:9]
	global_load_dwordx4 v[16:19], v26, s[8:9]
	v_mul_lo_u16_sdwa v25, v90, s2 dst_sel:DWORD dst_unused:UNUSED_PAD src0_sel:BYTE_0 src1_sel:DWORD
	v_lshrrev_b16_e32 v134, 12, v25
	v_mul_lo_u16_e32 v25, 17, v134
	v_sub_u16_e32 v135, v90, v25
	s_mov_b32 s2, 0xf0f1
	v_lshlrev_b32_sdwa v32, v24, v135 dst_sel:DWORD dst_unused:UNUSED_PAD src0_sel:DWORD src1_sel:BYTE_0
	v_mul_u32_u24_sdwa v24, v91, s2 dst_sel:DWORD dst_unused:UNUSED_PAD src0_sel:WORD_0 src1_sel:DWORD
	v_lshrrev_b32_e32 v136, 20, v24
	v_mul_lo_u16_e32 v24, 17, v136
	v_sub_u16_e32 v137, v91, v24
	v_lshlrev_b32_e32 v33, 4, v137
	global_load_dwordx4 v[24:27], v32, s[8:9]
	global_load_dwordx4 v[28:31], v33, s[8:9]
	v_mul_u32_u24_sdwa v32, v92, s2 dst_sel:DWORD dst_unused:UNUSED_PAD src0_sel:WORD_0 src1_sel:DWORD
	v_mul_u32_u24_sdwa v33, v93, s2 dst_sel:DWORD dst_unused:UNUSED_PAD src0_sel:WORD_0 src1_sel:DWORD
	;; [unrolled: 1-line block ×4, first 2 shown]
	v_lshrrev_b32_e32 v138, 20, v32
	v_lshrrev_b32_e32 v140, 20, v33
	;; [unrolled: 1-line block ×4, first 2 shown]
	v_mul_lo_u16_e32 v32, 17, v138
	v_mul_lo_u16_e32 v33, 17, v140
	;; [unrolled: 1-line block ×4, first 2 shown]
	v_sub_u16_e32 v139, v92, v32
	v_sub_u16_e32 v141, v93, v33
	;; [unrolled: 1-line block ×4, first 2 shown]
	v_lshlrev_b32_e32 v32, 4, v139
	v_lshlrev_b32_e32 v36, 4, v141
	;; [unrolled: 1-line block ×4, first 2 shown]
	global_load_dwordx4 v[32:35], v32, s[8:9]
	s_nop 0
	global_load_dwordx4 v[36:39], v36, s[8:9]
	s_nop 0
	;; [unrolled: 2-line block ×3, first 2 shown]
	global_load_dwordx4 v[44:47], v44, s[8:9]
	v_mul_u32_u24_sdwa v48, v86, s2 dst_sel:DWORD dst_unused:UNUSED_PAD src0_sel:WORD_0 src1_sel:DWORD
	v_lshrrev_b32_e32 v159, 20, v48
	v_mul_lo_u16_e32 v48, 17, v159
	v_sub_u16_e32 v160, v86, v48
	v_lshlrev_b32_e32 v48, 4, v160
	global_load_dwordx4 v[48:51], v48, s[8:9]
	s_movk_i32 s2, 0x110
	v_mov_b32_e32 v142, 3
	v_mad_u32_u24 v52, v52, s2, 0
	v_lshlrev_b32_sdwa v53, v142, v53 dst_sel:DWORD dst_unused:UNUSED_PAD src0_sel:DWORD src1_sel:BYTE_0
	v_mad_u32_u24 v143, v131, s2, 0
	v_mad_u32_u24 v134, v134, s2, 0
	;; [unrolled: 1-line block ×4, first 2 shown]
	v_lshlrev_b32_sdwa v135, v142, v135 dst_sel:DWORD dst_unused:UNUSED_PAD src0_sel:DWORD src1_sel:BYTE_0
	v_lshlrev_b32_e32 v137, 3, v137
	v_lshlrev_b32_e32 v139, 3, v139
	v_add3_u32 v131, v52, v53, v130
	v_add3_u32 v134, v134, v135, v130
	;; [unrolled: 1-line block ×4, first 2 shown]
	v_mad_u32_u24 v161, v140, s2, 0
	v_lshlrev_b32_sdwa v133, v142, v133 dst_sel:DWORD dst_unused:UNUSED_PAD src0_sel:DWORD src1_sel:BYTE_0
	v_lshlrev_b32_e32 v162, 3, v141
	v_add3_u32 v133, v143, v133, v130
	s_waitcnt vmcnt(0) lgkmcnt(0)
	s_barrier
	v_mul_f64 v[52:53], v[0:1], v[22:23]
	v_mul_f64 v[137:138], v[2:3], v[18:19]
	v_fma_f64 v[52:53], v[80:81], v[20:21], -v[52:53]
	v_fma_f64 v[137:138], v[82:83], v[16:17], -v[137:138]
	v_mul_f64 v[139:140], v[4:5], v[26:27]
	v_mul_f64 v[141:142], v[6:7], v[30:31]
	v_add_f64 v[153:154], v[99:100], -v[52:53]
	v_add_f64 v[137:138], v[101:102], -v[137:138]
	v_fma_f64 v[139:140], v[76:77], v[24:25], -v[139:140]
	v_fma_f64 v[141:142], v[78:79], v[28:29], -v[141:142]
	v_fma_f64 v[99:100], v[99:100], 2.0, -v[153:154]
	v_fma_f64 v[101:102], v[101:102], 2.0, -v[137:138]
	v_add_f64 v[139:140], v[103:104], -v[139:140]
	v_add_f64 v[141:142], v[105:106], -v[141:142]
	v_mul_f64 v[143:144], v[8:9], v[34:35]
	v_mul_f64 v[145:146], v[10:11], v[38:39]
	;; [unrolled: 1-line block ×4, first 2 shown]
	v_fma_f64 v[103:104], v[103:104], 2.0, -v[139:140]
	v_fma_f64 v[105:106], v[105:106], 2.0, -v[141:142]
	v_mul_f64 v[151:152], v[119:120], v[50:51]
	v_fma_f64 v[145:146], v[74:75], v[36:37], -v[145:146]
	v_fma_f64 v[147:148], v[68:69], v[40:41], -v[147:148]
	;; [unrolled: 1-line block ×5, first 2 shown]
	v_add_f64 v[145:146], v[109:110], -v[145:146]
	v_add_f64 v[147:148], v[111:112], -v[147:148]
	;; [unrolled: 1-line block ×5, first 2 shown]
	v_fma_f64 v[109:110], v[109:110], 2.0, -v[145:146]
	v_fma_f64 v[111:112], v[111:112], 2.0, -v[147:148]
	;; [unrolled: 1-line block ×4, first 2 shown]
	ds_write2_b64 v131, v[99:100], v[153:154] offset1:17
	ds_write2_b64 v133, v[101:102], v[137:138] offset1:17
	;; [unrolled: 1-line block ×5, first 2 shown]
	v_mad_u32_u24 v100, v155, s2, 0
	v_lshlrev_b32_e32 v101, 3, v156
	v_add3_u32 v102, v100, v101, v130
	v_mad_u32_u24 v100, v157, s2, 0
	v_lshlrev_b32_e32 v101, 3, v158
	v_add3_u32 v99, v161, v162, v130
	v_add3_u32 v103, v100, v101, v130
	v_mul_lo_u16_e32 v100, 34, v159
	v_lshl_add_u32 v101, v160, 3, 0
	ds_write2_b64 v99, v[109:110], v[145:146] offset1:17
	ds_write2_b64 v102, v[111:112], v[147:148] offset1:17
	;; [unrolled: 1-line block ×3, first 2 shown]
	s_and_saveexec_b64 s[2:3], s[0:1]
	s_cbranch_execz .LBB0_18
; %bb.17:
	v_fma_f64 v[95:96], v[95:96], 2.0, -v[52:53]
	v_lshlrev_b32_e32 v104, 3, v100
	v_add3_u32 v104, v101, v104, v130
	ds_write2_b64 v104, v[95:96], v[52:53] offset1:17
.LBB0_18:
	s_or_b64 exec, exec, s[2:3]
	v_mul_f64 v[22:23], v[80:81], v[22:23]
	v_mul_f64 v[18:19], v[82:83], v[18:19]
	;; [unrolled: 1-line block ×8, first 2 shown]
	v_fma_f64 v[0:1], v[0:1], v[20:21], v[22:23]
	v_mul_f64 v[20:21], v[97:98], v[50:51]
	v_fma_f64 v[2:3], v[2:3], v[16:17], v[18:19]
	v_fma_f64 v[4:5], v[4:5], v[24:25], v[26:27]
	;; [unrolled: 1-line block ×8, first 2 shown]
	v_add_f64 v[37:38], v[56:57], -v[0:1]
	v_add_f64 v[42:43], v[58:59], -v[2:3]
	;; [unrolled: 1-line block ×7, first 2 shown]
	s_waitcnt lgkmcnt(0)
	s_barrier
	ds_read_b64 v[35:36], v122
	ds_read_b64 v[30:31], v124
	;; [unrolled: 1-line block ×8, first 2 shown]
	v_add_f64 v[68:69], v[115:116], -v[12:13]
	v_fma_f64 v[56:57], v[56:57], 2.0, -v[37:38]
	v_add_f64 v[32:33], v[54:55], -v[16:17]
	v_fma_f64 v[72:73], v[58:59], 2.0, -v[42:43]
	v_fma_f64 v[60:61], v[60:61], 2.0, -v[44:45]
	v_fma_f64 v[76:77], v[117:118], 2.0, -v[70:71]
	v_add3_u32 v117, 0, v132, v130
	v_add_u32_e32 v41, 0x1000, v121
	v_add_u32_e32 v40, 0x1400, v121
	;; [unrolled: 1-line block ×4, first 2 shown]
	v_fma_f64 v[62:63], v[62:63], 2.0, -v[46:47]
	ds_read_b64 v[16:17], v117
	ds_read2_b64 v[12:15], v41 offset0:100 offset1:168
	ds_read2_b64 v[8:11], v40 offset0:108 offset1:176
	;; [unrolled: 1-line block ×4, first 2 shown]
	v_fma_f64 v[64:65], v[64:65], 2.0, -v[48:49]
	v_fma_f64 v[66:67], v[66:67], 2.0, -v[50:51]
	v_fma_f64 v[74:75], v[115:116], 2.0, -v[68:69]
	s_waitcnt lgkmcnt(0)
	s_barrier
	ds_write2_b64 v131, v[56:57], v[37:38] offset1:17
	ds_write2_b64 v133, v[72:73], v[42:43] offset1:17
	;; [unrolled: 1-line block ×8, first 2 shown]
	s_and_saveexec_b64 s[2:3], s[0:1]
	s_cbranch_execz .LBB0_20
; %bb.19:
	v_fma_f64 v[37:38], v[54:55], 2.0, -v[32:33]
	v_lshlrev_b32_e32 v34, 3, v100
	v_add3_u32 v34, v101, v34, v130
	ds_write2_b64 v34, v[37:38], v[32:33] offset1:17
.LBB0_20:
	s_or_b64 exec, exec, s[2:3]
	v_subrev_u32_e32 v34, 34, v84
	v_cndmask_b32_e64 v42, v34, v84, s[0:1]
	v_lshlrev_b32_e32 v37, 4, v42
	v_mov_b32_e32 v38, 0
	v_lshlrev_b64 v[37:38], 4, v[37:38]
	v_mov_b32_e32 v39, s9
	v_add_co_u32_e64 v37, s[2:3], s8, v37
	v_addc_co_u32_e64 v38, s[2:3], v39, v38, s[2:3]
	s_waitcnt lgkmcnt(0)
	s_barrier
	global_load_dwordx4 v[43:46], v[37:38], off offset:272
	global_load_dwordx4 v[47:50], v[37:38], off offset:288
	;; [unrolled: 1-line block ×16, first 2 shown]
	ds_read_b64 v[38:39], v122
	ds_read_b64 v[68:69], v124
	;; [unrolled: 1-line block ×9, first 2 shown]
	ds_read2_b64 v[159:162], v41 offset0:100 offset1:168
	ds_read2_b64 v[163:166], v40 offset0:108 offset1:176
	;; [unrolled: 1-line block ×4, first 2 shown]
	s_mov_b32 s26, 0x5d8e7cdc
	s_mov_b32 s40, 0x2a9d6da3
	;; [unrolled: 1-line block ×46, first 2 shown]
	v_cmp_lt_u32_e64 s[2:3], 33, v84
	v_lshlrev_b32_e32 v42, 3, v42
	s_waitcnt vmcnt(0) lgkmcnt(0)
	s_barrier
	v_mul_f64 v[76:77], v[68:69], v[45:46]
	v_mul_f64 v[99:100], v[74:75], v[49:50]
	;; [unrolled: 1-line block ×8, first 2 shown]
	v_fma_f64 v[109:110], v[30:31], v[43:44], -v[76:77]
	v_fma_f64 v[105:106], v[28:29], v[47:48], -v[99:100]
	v_mul_f64 v[181:182], v[115:116], v[66:67]
	v_fma_f64 v[99:100], v[26:27], v[54:55], -v[101:102]
	v_mul_f64 v[66:67], v[22:23], v[66:67]
	;; [unrolled: 2-line block ×3, first 2 shown]
	v_mul_f64 v[153:154], v[6:7], v[153:154]
	v_add_f64 v[28:29], v[35:36], v[109:110]
	v_mul_f64 v[183:184], v[118:119], v[72:73]
	v_mul_f64 v[185:186], v[175:176], v[80:81]
	;; [unrolled: 1-line block ×7, first 2 shown]
	v_add_f64 v[26:27], v[28:29], v[105:106]
	v_mul_f64 v[157:158], v[4:5], v[157:158]
	v_fma_f64 v[113:114], v[68:69], v[43:44], v[45:46]
	v_fma_f64 v[101:102], v[82:83], v[54:55], v[56:57]
	v_fma_f64 v[68:69], v[22:23], v[64:65], -v[181:182]
	v_fma_f64 v[82:83], v[173:174], v[151:152], v[153:154]
	v_mul_f64 v[72:73], v[20:21], v[72:73]
	v_mul_f64 v[80:81], v[18:19], v[80:81]
	v_add_f64 v[24:25], v[26:27], v[99:100]
	v_mul_f64 v[193:194], v[163:164], v[137:138]
	v_mul_f64 v[195:196], v[165:166], v[141:142]
	;; [unrolled: 1-line block ×4, first 2 shown]
	v_fma_f64 v[103:104], v[74:75], v[47:48], v[49:50]
	v_fma_f64 v[66:67], v[115:116], v[64:65], v[66:67]
	v_fma_f64 v[48:49], v[20:21], v[70:71], -v[183:184]
	v_add_f64 v[43:44], v[24:25], v[76:77]
	v_fma_f64 v[26:27], v[18:19], v[78:79], -v[185:186]
	v_fma_f64 v[20:21], v[16:17], v[95:96], -v[187:188]
	v_fma_f64 v[16:17], v[177:178], v[95:96], v[97:98]
	v_fma_f64 v[22:23], v[12:13], v[111:112], -v[30:31]
	v_fma_f64 v[18:19], v[159:160], v[111:112], v[189:190]
	v_fma_f64 v[115:116], v[6:7], v[151:152], -v[203:204]
	v_fma_f64 v[111:112], v[4:5], v[155:156], -v[201:202]
	v_add_f64 v[12:13], v[43:44], v[68:69]
	v_fma_f64 v[95:96], v[171:172], v[155:156], v[157:158]
	v_add_f64 v[4:5], v[113:114], -v[82:83]
	v_mul_f64 v[191:192], v[161:162], v[133:134]
	v_mul_f64 v[137:138], v[8:9], v[137:138]
	;; [unrolled: 1-line block ×5, first 2 shown]
	v_fma_f64 v[74:75], v[107:108], v[60:61], v[62:63]
	v_fma_f64 v[46:47], v[118:119], v[70:71], v[72:73]
	v_fma_f64 v[24:25], v[175:176], v[78:79], v[80:81]
	v_fma_f64 v[56:57], v[8:9], v[135:136], -v[193:194]
	v_fma_f64 v[72:73], v[10:11], v[139:140], -v[195:196]
	;; [unrolled: 1-line block ×3, first 2 shown]
	v_add_f64 v[0:1], v[12:13], v[48:49]
	v_fma_f64 v[107:108], v[2:3], v[147:148], -v[199:200]
	v_add_f64 v[2:3], v[109:110], v[115:116]
	v_add_f64 v[8:9], v[103:104], -v[95:96]
	v_mul_f64 v[10:11], v[4:5], s[26:27]
	v_mul_f64 v[12:13], v[4:5], s[40:41]
	;; [unrolled: 1-line block ×3, first 2 shown]
	v_fma_f64 v[30:31], v[14:15], v[131:132], -v[191:192]
	v_fma_f64 v[70:71], v[165:166], v[139:140], v[141:142]
	v_add_f64 v[6:7], v[105:106], v[111:112]
	v_mul_f64 v[14:15], v[4:5], s[42:43]
	v_mul_f64 v[43:44], v[4:5], s[36:37]
	;; [unrolled: 1-line block ×8, first 2 shown]
	v_fma_f64 v[139:140], v[2:3], s[6:7], -v[10:11]
	v_fma_f64 v[141:142], v[2:3], s[10:11], -v[12:13]
	v_fma_f64 v[12:13], v[2:3], s[10:11], v[12:13]
	v_fma_f64 v[28:29], v[161:162], v[131:132], v[133:134]
	;; [unrolled: 1-line block ×5, first 2 shown]
	v_mul_f64 v[131:132], v[8:9], s[24:25]
	v_mul_f64 v[133:134], v[8:9], s[38:39]
	;; [unrolled: 1-line block ×3, first 2 shown]
	v_fma_f64 v[10:11], v[2:3], s[6:7], v[10:11]
	v_fma_f64 v[143:144], v[2:3], s[4:5], -v[14:15]
	v_fma_f64 v[14:15], v[2:3], s[4:5], v[14:15]
	v_fma_f64 v[145:146], v[2:3], s[16:17], -v[43:44]
	;; [unrolled: 2-line block ×7, first 2 shown]
	v_fma_f64 v[155:156], v[6:7], s[16:17], -v[118:119]
	v_fma_f64 v[118:119], v[6:7], s[16:17], v[118:119]
	v_add_f64 v[139:140], v[35:36], v[139:140]
	v_add_f64 v[12:13], v[35:36], v[12:13]
	v_mul_f64 v[137:138], v[8:9], s[46:47]
	v_fma_f64 v[64:65], v[6:7], s[10:11], v[64:65]
	v_fma_f64 v[157:158], v[6:7], s[22:23], -v[131:132]
	v_fma_f64 v[131:132], v[6:7], s[22:23], v[131:132]
	v_fma_f64 v[159:160], v[6:7], s[34:35], -v[133:134]
	;; [unrolled: 2-line block ×3, first 2 shown]
	v_add_f64 v[10:11], v[35:36], v[10:11]
	v_add_f64 v[141:142], v[35:36], v[141:142]
	;; [unrolled: 1-line block ×9, first 2 shown]
	v_mul_f64 v[118:119], v[8:9], s[44:45]
	v_add_f64 v[139:140], v[101:102], -v[97:98]
	v_add_f64 v[50:51], v[35:36], v[50:51]
	v_add_f64 v[149:150], v[35:36], v[149:150]
	;; [unrolled: 1-line block ×14, first 2 shown]
	v_fma_f64 v[135:136], v[6:7], s[28:29], v[135:136]
	v_fma_f64 v[141:142], v[6:7], s[18:19], -v[137:138]
	v_fma_f64 v[143:144], v[6:7], s[4:5], -v[118:119]
	v_mul_f64 v[8:9], v[8:9], s[48:49]
	v_add_f64 v[145:146], v[99:100], v[107:108]
	v_mul_f64 v[147:148], v[139:140], s[42:43]
	v_fma_f64 v[118:119], v[6:7], s[4:5], v[118:119]
	v_fma_f64 v[137:138], v[6:7], s[18:19], v[137:138]
	v_add_f64 v[50:51], v[135:136], v[50:51]
	v_add_f64 v[135:136], v[141:142], v[149:150]
	;; [unrolled: 1-line block ×3, first 2 shown]
	v_fma_f64 v[141:142], v[6:7], s[6:7], -v[8:9]
	v_fma_f64 v[6:7], v[6:7], s[6:7], v[8:9]
	v_fma_f64 v[8:9], v[145:146], s[4:5], -v[147:148]
	v_add_f64 v[62:63], v[118:119], v[62:63]
	v_mul_f64 v[118:119], v[139:140], s[24:25]
	v_add_f64 v[60:61], v[137:138], v[60:61]
	v_add_f64 v[137:138], v[143:144], v[151:152]
	v_mul_f64 v[143:144], v[139:140], s[58:59]
	v_mul_f64 v[151:152], v[139:140], s[50:51]
	v_add_f64 v[2:3], v[6:7], v[2:3]
	v_add_f64 v[4:5], v[8:9], v[4:5]
	v_fma_f64 v[6:7], v[145:146], s[4:5], v[147:148]
	v_fma_f64 v[8:9], v[145:146], s[22:23], -v[118:119]
	v_mul_f64 v[147:148], v[139:140], s[46:47]
	v_fma_f64 v[118:119], v[145:146], s[22:23], v[118:119]
	v_fma_f64 v[149:150], v[145:146], s[34:35], -v[143:144]
	v_add_f64 v[141:142], v[141:142], v[153:154]
	v_add_f64 v[0:1], v[0:1], v[20:21]
	;; [unrolled: 1-line block ×3, first 2 shown]
	v_fma_f64 v[10:11], v[145:146], s[34:35], v[143:144]
	v_fma_f64 v[143:144], v[145:146], s[18:19], -v[147:148]
	v_add_f64 v[8:9], v[8:9], v[35:36]
	v_fma_f64 v[35:36], v[145:146], s[18:19], v[147:148]
	v_add_f64 v[12:13], v[118:119], v[12:13]
	v_fma_f64 v[118:119], v[145:146], s[10:11], -v[151:152]
	v_mul_f64 v[147:148], v[139:140], s[26:27]
	v_add_f64 v[64:65], v[149:150], v[64:65]
	v_add_f64 v[10:11], v[10:11], v[14:15]
	;; [unrolled: 1-line block ×3, first 2 shown]
	v_mul_f64 v[131:132], v[139:140], s[36:37]
	v_fma_f64 v[143:144], v[145:146], s[10:11], v[151:152]
	v_add_f64 v[35:36], v[35:36], v[43:44]
	v_add_f64 v[43:44], v[74:75], -v[78:79]
	v_add_f64 v[118:119], v[118:119], v[133:134]
	v_fma_f64 v[133:134], v[145:146], s[6:7], -v[147:148]
	v_mul_f64 v[139:140], v[139:140], s[30:31]
	v_fma_f64 v[147:148], v[145:146], s[6:7], v[147:148]
	v_fma_f64 v[149:150], v[145:146], s[16:17], -v[131:132]
	v_add_f64 v[50:51], v[143:144], v[50:51]
	v_add_f64 v[143:144], v[76:77], v[80:81]
	v_mul_f64 v[151:152], v[43:44], s[36:37]
	v_fma_f64 v[131:132], v[145:146], s[16:17], v[131:132]
	v_add_f64 v[133:134], v[133:134], v[135:136]
	v_fma_f64 v[135:136], v[145:146], s[28:29], -v[139:140]
	v_add_f64 v[60:61], v[147:148], v[60:61]
	v_add_f64 v[137:138], v[149:150], v[137:138]
	v_fma_f64 v[139:140], v[145:146], s[28:29], v[139:140]
	v_mul_f64 v[145:146], v[43:44], s[38:39]
	v_fma_f64 v[147:148], v[143:144], s[16:17], -v[151:152]
	v_add_f64 v[62:63], v[131:132], v[62:63]
	v_mul_f64 v[131:132], v[43:44], s[46:47]
	v_add_f64 v[135:136], v[135:136], v[141:142]
	v_fma_f64 v[141:142], v[143:144], s[16:17], v[151:152]
	v_mul_f64 v[149:150], v[43:44], s[48:49]
	v_add_f64 v[2:3], v[139:140], v[2:3]
	v_fma_f64 v[139:140], v[143:144], s[34:35], -v[145:146]
	v_add_f64 v[4:5], v[147:148], v[4:5]
	v_fma_f64 v[145:146], v[143:144], s[34:35], v[145:146]
	v_fma_f64 v[147:148], v[143:144], s[18:19], -v[131:132]
	v_fma_f64 v[131:132], v[143:144], s[18:19], v[131:132]
	v_add_f64 v[6:7], v[141:142], v[6:7]
	v_fma_f64 v[141:142], v[143:144], s[6:7], -v[149:150]
	v_mul_f64 v[151:152], v[43:44], s[42:43]
	v_add_f64 v[8:9], v[139:140], v[8:9]
	v_mul_f64 v[139:140], v[43:44], s[30:31]
	v_add_f64 v[12:13], v[145:146], v[12:13]
	v_add_f64 v[64:65], v[147:148], v[64:65]
	;; [unrolled: 1-line block ×3, first 2 shown]
	v_fma_f64 v[131:132], v[143:144], s[6:7], v[149:150]
	v_add_f64 v[14:15], v[141:142], v[14:15]
	v_fma_f64 v[141:142], v[143:144], s[4:5], -v[151:152]
	v_fma_f64 v[145:146], v[143:144], s[4:5], v[151:152]
	v_mul_f64 v[149:150], v[43:44], s[56:57]
	v_fma_f64 v[147:148], v[143:144], s[28:29], -v[139:140]
	v_mul_f64 v[43:44], v[43:44], s[50:51]
	v_fma_f64 v[139:140], v[143:144], s[28:29], v[139:140]
	v_add_f64 v[35:36], v[131:132], v[35:36]
	v_add_f64 v[131:132], v[66:67], -v[70:71]
	v_add_f64 v[118:119], v[141:142], v[118:119]
	v_add_f64 v[50:51], v[145:146], v[50:51]
	v_fma_f64 v[141:142], v[143:144], s[22:23], -v[149:150]
	v_fma_f64 v[145:146], v[143:144], s[22:23], v[149:150]
	v_add_f64 v[149:150], v[68:69], v[72:73]
	v_add_f64 v[133:134], v[147:148], v[133:134]
	v_fma_f64 v[147:148], v[143:144], s[10:11], -v[43:44]
	v_mul_f64 v[151:152], v[131:132], s[20:21]
	v_fma_f64 v[43:44], v[143:144], s[10:11], v[43:44]
	v_add_f64 v[60:61], v[139:140], v[60:61]
	v_mul_f64 v[139:140], v[131:132], s[52:53]
	v_add_f64 v[137:138], v[141:142], v[137:138]
	v_mul_f64 v[141:142], v[131:132], s[50:51]
	v_add_f64 v[62:63], v[145:146], v[62:63]
	v_add_f64 v[135:136], v[147:148], v[135:136]
	v_fma_f64 v[143:144], v[149:150], s[18:19], -v[151:152]
	v_add_f64 v[2:3], v[43:44], v[2:3]
	v_fma_f64 v[43:44], v[149:150], s[18:19], v[151:152]
	v_fma_f64 v[145:146], v[149:150], s[28:29], -v[139:140]
	v_fma_f64 v[139:140], v[149:150], s[28:29], v[139:140]
	v_fma_f64 v[147:148], v[149:150], s[10:11], -v[141:142]
	v_mul_f64 v[151:152], v[131:132], s[42:43]
	v_fma_f64 v[141:142], v[149:150], s[10:11], v[141:142]
	v_add_f64 v[4:5], v[143:144], v[4:5]
	v_mul_f64 v[143:144], v[131:132], s[38:39]
	v_add_f64 v[6:7], v[43:44], v[6:7]
	v_add_f64 v[8:9], v[145:146], v[8:9]
	v_add_f64 v[12:13], v[139:140], v[12:13]
	v_add_f64 v[43:44], v[147:148], v[64:65]
	v_fma_f64 v[64:65], v[149:150], s[4:5], -v[151:152]
	v_add_f64 v[10:11], v[141:142], v[10:11]
	v_fma_f64 v[139:140], v[149:150], s[4:5], v[151:152]
	v_fma_f64 v[141:142], v[149:150], s[34:35], -v[143:144]
	v_mul_f64 v[145:146], v[131:132], s[54:55]
	v_fma_f64 v[143:144], v[149:150], s[34:35], v[143:144]
	v_add_f64 v[147:148], v[48:49], v[56:57]
	v_add_f64 v[0:1], v[0:1], v[22:23]
	;; [unrolled: 1-line block ×3, first 2 shown]
	v_mul_f64 v[64:65], v[131:132], s[26:27]
	v_add_f64 v[35:36], v[139:140], v[35:36]
	v_add_f64 v[118:119], v[141:142], v[118:119]
	v_add_f64 v[139:140], v[46:47], -v[54:55]
	v_mul_f64 v[131:132], v[131:132], s[24:25]
	v_fma_f64 v[141:142], v[149:150], s[16:17], -v[145:146]
	v_add_f64 v[50:51], v[143:144], v[50:51]
	v_fma_f64 v[143:144], v[149:150], s[16:17], v[145:146]
	v_fma_f64 v[145:146], v[149:150], s[6:7], -v[64:65]
	v_fma_f64 v[64:65], v[149:150], s[6:7], v[64:65]
	v_add_f64 v[0:1], v[0:1], v[30:31]
	v_mul_f64 v[151:152], v[139:140], s[24:25]
	v_fma_f64 v[153:154], v[149:150], s[22:23], -v[131:132]
	v_add_f64 v[133:134], v[141:142], v[133:134]
	v_fma_f64 v[131:132], v[149:150], s[22:23], v[131:132]
	v_mul_f64 v[141:142], v[139:140], s[46:47]
	v_add_f64 v[137:138], v[145:146], v[137:138]
	v_add_f64 v[62:63], v[64:65], v[62:63]
	v_mul_f64 v[145:146], v[139:140], s[30:31]
	v_fma_f64 v[64:65], v[147:148], s[22:23], -v[151:152]
	v_add_f64 v[60:61], v[143:144], v[60:61]
	v_mul_f64 v[143:144], v[139:140], s[26:27]
	v_add_f64 v[2:3], v[131:132], v[2:3]
	v_fma_f64 v[131:132], v[147:148], s[22:23], v[151:152]
	v_fma_f64 v[149:150], v[147:148], s[18:19], -v[141:142]
	v_fma_f64 v[141:142], v[147:148], s[18:19], v[141:142]
	v_add_f64 v[135:136], v[153:154], v[135:136]
	v_add_f64 v[4:5], v[64:65], v[4:5]
	v_mul_f64 v[64:65], v[139:140], s[54:55]
	v_fma_f64 v[151:152], v[147:148], s[6:7], -v[143:144]
	v_fma_f64 v[143:144], v[147:148], s[6:7], v[143:144]
	v_add_f64 v[6:7], v[131:132], v[6:7]
	v_fma_f64 v[131:132], v[147:148], s[28:29], -v[145:146]
	v_add_f64 v[12:13], v[141:142], v[12:13]
	v_fma_f64 v[141:142], v[147:148], s[28:29], v[145:146]
	v_add_f64 v[8:9], v[149:150], v[8:9]
	v_fma_f64 v[145:146], v[147:148], s[16:17], -v[64:65]
	v_fma_f64 v[64:65], v[147:148], s[16:17], v[64:65]
	v_add_f64 v[43:44], v[151:152], v[43:44]
	v_add_f64 v[10:11], v[143:144], v[10:11]
	;; [unrolled: 1-line block ×3, first 2 shown]
	v_mul_f64 v[131:132], v[139:140], s[38:39]
	v_add_f64 v[35:36], v[141:142], v[35:36]
	v_add_f64 v[141:142], v[24:25], -v[28:29]
	v_mul_f64 v[143:144], v[139:140], s[40:41]
	v_mul_f64 v[139:140], v[139:140], s[44:45]
	v_add_f64 v[50:51], v[64:65], v[50:51]
	v_add_f64 v[149:150], v[26:27], v[30:31]
	;; [unrolled: 1-line block ×3, first 2 shown]
	v_fma_f64 v[64:65], v[147:148], s[34:35], -v[131:132]
	v_fma_f64 v[131:132], v[147:148], s[34:35], v[131:132]
	v_mul_f64 v[151:152], v[141:142], s[30:31]
	v_fma_f64 v[145:146], v[147:148], s[10:11], -v[143:144]
	v_fma_f64 v[143:144], v[147:148], s[10:11], v[143:144]
	v_fma_f64 v[153:154], v[147:148], s[4:5], -v[139:140]
	v_fma_f64 v[139:140], v[147:148], s[4:5], v[139:140]
	v_add_f64 v[0:1], v[0:1], v[56:57]
	v_add_f64 v[64:65], v[64:65], v[137:138]
	v_mul_f64 v[137:138], v[141:142], s[44:45]
	v_add_f64 v[62:63], v[131:132], v[62:63]
	v_fma_f64 v[131:132], v[149:150], s[28:29], -v[151:152]
	v_add_f64 v[133:134], v[145:146], v[133:134]
	v_add_f64 v[60:61], v[143:144], v[60:61]
	v_mul_f64 v[143:144], v[141:142], s[36:37]
	v_fma_f64 v[145:146], v[149:150], s[28:29], v[151:152]
	v_add_f64 v[2:3], v[139:140], v[2:3]
	v_mul_f64 v[139:140], v[141:142], s[56:57]
	v_fma_f64 v[147:148], v[149:150], s[4:5], -v[137:138]
	v_fma_f64 v[137:138], v[149:150], s[4:5], v[137:138]
	v_add_f64 v[4:5], v[131:132], v[4:5]
	v_mul_f64 v[131:132], v[141:142], s[26:27]
	v_fma_f64 v[151:152], v[149:150], s[16:17], -v[143:144]
	v_add_f64 v[6:7], v[145:146], v[6:7]
	v_fma_f64 v[143:144], v[149:150], s[16:17], v[143:144]
	v_fma_f64 v[145:146], v[149:150], s[22:23], -v[139:140]
	v_add_f64 v[8:9], v[147:148], v[8:9]
	v_add_f64 v[12:13], v[137:138], v[12:13]
	v_fma_f64 v[137:138], v[149:150], s[22:23], v[139:140]
	v_fma_f64 v[139:140], v[149:150], s[6:7], -v[131:132]
	v_mul_f64 v[147:148], v[141:142], s[38:39]
	v_fma_f64 v[131:132], v[149:150], s[6:7], v[131:132]
	v_add_f64 v[10:11], v[143:144], v[10:11]
	v_mul_f64 v[143:144], v[141:142], s[50:51]
	v_add_f64 v[43:44], v[151:152], v[43:44]
	v_add_f64 v[14:15], v[145:146], v[14:15]
	;; [unrolled: 1-line block ×4, first 2 shown]
	v_add_f64 v[139:140], v[16:17], -v[18:19]
	v_fma_f64 v[35:36], v[149:150], s[34:35], -v[147:148]
	v_fma_f64 v[145:146], v[149:150], s[34:35], v[147:148]
	v_mul_f64 v[141:142], v[141:142], s[20:21]
	v_add_f64 v[50:51], v[131:132], v[50:51]
	v_fma_f64 v[131:132], v[149:150], s[10:11], -v[143:144]
	v_fma_f64 v[143:144], v[149:150], s[10:11], v[143:144]
	v_add_f64 v[147:148], v[20:21], v[22:23]
	v_mul_f64 v[151:152], v[139:140], s[38:39]
	v_add_f64 v[0:1], v[0:1], v[72:73]
	v_add_f64 v[135:136], v[153:154], v[135:136]
	;; [unrolled: 1-line block ×4, first 2 shown]
	v_fma_f64 v[35:36], v[149:150], s[18:19], -v[141:142]
	v_mul_f64 v[145:146], v[139:140], s[48:49]
	v_add_f64 v[64:65], v[131:132], v[64:65]
	v_add_f64 v[62:63], v[143:144], v[62:63]
	v_fma_f64 v[131:132], v[149:150], s[18:19], v[141:142]
	v_mul_f64 v[143:144], v[139:140], s[30:31]
	v_fma_f64 v[149:150], v[147:148], s[34:35], v[151:152]
	v_add_f64 v[0:1], v[0:1], v[80:81]
	v_fma_f64 v[141:142], v[147:148], s[34:35], -v[151:152]
	v_add_f64 v[135:136], v[35:36], v[135:136]
	v_fma_f64 v[151:152], v[147:148], s[6:7], -v[145:146]
	v_fma_f64 v[145:146], v[147:148], s[6:7], v[145:146]
	v_add_f64 v[2:3], v[131:132], v[2:3]
	v_fma_f64 v[131:132], v[147:148], s[28:29], -v[143:144]
	v_add_f64 v[36:37], v[149:150], v[6:7]
	v_fma_f64 v[6:7], v[147:148], s[28:29], v[143:144]
	v_mul_f64 v[153:154], v[139:140], s[50:51]
	v_add_f64 v[0:1], v[0:1], v[107:108]
	v_add_f64 v[4:5], v[141:142], v[4:5]
	v_add_f64 v[12:13], v[145:146], v[12:13]
	v_mul_f64 v[145:146], v[139:140], s[24:25]
	v_add_f64 v[43:44], v[131:132], v[43:44]
	v_mul_f64 v[131:132], v[139:140], s[44:45]
	v_add_f64 v[6:7], v[6:7], v[10:11]
	v_mul_f64 v[10:11], v[139:140], s[20:21]
	v_mul_f64 v[139:140], v[139:140], s[54:55]
	v_fma_f64 v[141:142], v[147:148], s[10:11], -v[153:154]
	v_fma_f64 v[143:144], v[147:148], s[10:11], v[153:154]
	v_add_f64 v[0:1], v[0:1], v[111:112]
	v_add_f64 v[8:9], v[151:152], v[8:9]
	v_mov_b32_e32 v35, 0x1210
	v_cndmask_b32_e64 v35, 0, v35, s[2:3]
	v_fma_f64 v[149:150], v[147:148], s[18:19], -v[10:11]
	v_fma_f64 v[10:11], v[147:148], s[18:19], v[10:11]
	v_fma_f64 v[151:152], v[147:148], s[16:17], -v[139:140]
	v_fma_f64 v[139:140], v[147:148], s[16:17], v[139:140]
	v_add_f64 v[14:15], v[141:142], v[14:15]
	v_add_f64 v[137:138], v[143:144], v[137:138]
	v_fma_f64 v[141:142], v[147:148], s[22:23], -v[145:146]
	v_fma_f64 v[143:144], v[147:148], s[22:23], v[145:146]
	v_fma_f64 v[145:146], v[147:148], s[4:5], -v[131:132]
	v_fma_f64 v[131:132], v[147:148], s[4:5], v[131:132]
	v_add_f64 v[0:1], v[0:1], v[115:116]
	v_add_f64 v[10:11], v[10:11], v[62:63]
	;; [unrolled: 1-line block ×9, first 2 shown]
	v_add_u32_e32 v35, 0, v35
	v_add3_u32 v35, v35, v42, v130
	ds_write2_b64 v35, v[0:1], v[4:5] offset1:34
	ds_write2_b64 v35, v[8:9], v[43:44] offset0:68 offset1:102
	ds_write2_b64 v35, v[14:15], v[118:119] offset0:136 offset1:170
	;; [unrolled: 1-line block ×3, first 2 shown]
	v_add_u32_e32 v118, 0x800, v35
	ds_write2_b64 v118, v[62:63], v[2:3] offset0:16 offset1:50
	ds_write2_b64 v118, v[10:11], v[60:61] offset0:84 offset1:118
	;; [unrolled: 1-line block ×4, first 2 shown]
	ds_write_b64 v35, v[36:37] offset:4352
	s_waitcnt lgkmcnt(0)
	s_barrier
	ds_read2_b64 v[0:3], v41 offset0:66 offset1:134
	ds_read2_b64 v[4:7], v40 offset0:74 offset1:142
	ds_read_b64 v[40:41], v122
	ds_read_b64 v[42:43], v124
	;; [unrolled: 1-line block ×4, first 2 shown]
	ds_read2_b64 v[8:11], v59 offset0:82 offset1:150
	ds_read2_b64 v[12:15], v58 offset0:90 offset1:158
	ds_read_b64 v[58:59], v123
	ds_read_b64 v[60:61], v126
	;; [unrolled: 1-line block ×4, first 2 shown]
	s_and_saveexec_b64 s[2:3], s[0:1]
	s_cbranch_execz .LBB0_22
; %bb.21:
	ds_read_b64 v[36:37], v117
	ds_read_b64 v[52:53], v121 offset:8976
.LBB0_22:
	s_or_b64 exec, exec, s[2:3]
	v_add_f64 v[119:120], v[38:39], v[113:114]
	v_add_f64 v[109:110], v[109:110], -v[115:116]
	v_add_f64 v[115:116], v[103:104], v[95:96]
	v_add_f64 v[105:106], v[105:106], -v[111:112]
	v_add_f64 v[111:112], v[101:102], v[97:98]
	v_add_f64 v[113:114], v[113:114], v[82:83]
	v_add_f64 v[99:100], v[99:100], -v[107:108]
	v_add_f64 v[76:77], v[76:77], -v[80:81]
	v_add_f64 v[103:104], v[119:120], v[103:104]
	v_mul_f64 v[107:108], v[109:110], s[26:27]
	v_mul_f64 v[119:120], v[109:110], s[40:41]
	;; [unrolled: 1-line block ×7, first 2 shown]
	v_add_f64 v[101:102], v[103:104], v[101:102]
	v_mul_f64 v[109:110], v[109:110], s[38:39]
	v_mul_f64 v[103:104], v[105:106], s[40:41]
	;; [unrolled: 1-line block ×5, first 2 shown]
	v_fma_f64 v[162:163], v[113:114], s[6:7], v[107:108]
	v_fma_f64 v[164:165], v[113:114], s[10:11], v[119:120]
	v_add_f64 v[101:102], v[101:102], v[74:75]
	v_fma_f64 v[119:120], v[113:114], s[10:11], -v[119:120]
	v_fma_f64 v[166:167], v[113:114], s[4:5], v[130:131]
	v_fma_f64 v[130:131], v[113:114], s[4:5], -v[130:131]
	v_fma_f64 v[168:169], v[113:114], s[16:17], v[132:133]
	v_mul_f64 v[146:147], v[105:106], s[52:53]
	v_mul_f64 v[148:149], v[105:106], s[46:47]
	;; [unrolled: 1-line block ×3, first 2 shown]
	v_add_f64 v[101:102], v[101:102], v[66:67]
	v_mul_f64 v[105:106], v[105:106], s[48:49]
	v_mul_f64 v[152:153], v[99:100], s[42:43]
	;; [unrolled: 1-line block ×5, first 2 shown]
	v_fma_f64 v[107:108], v[113:114], s[6:7], -v[107:108]
	v_fma_f64 v[132:133], v[113:114], s[16:17], -v[132:133]
	v_add_f64 v[101:102], v[101:102], v[46:47]
	v_fma_f64 v[170:171], v[113:114], s[18:19], v[134:135]
	v_fma_f64 v[134:135], v[113:114], s[18:19], -v[134:135]
	v_fma_f64 v[172:173], v[113:114], s[22:23], v[136:137]
	v_fma_f64 v[136:137], v[113:114], s[22:23], -v[136:137]
	;; [unrolled: 2-line block ×3, first 2 shown]
	v_fma_f64 v[176:177], v[113:114], s[34:35], v[109:110]
	v_add_f64 v[101:102], v[101:102], v[24:25]
	v_fma_f64 v[109:110], v[113:114], s[34:35], -v[109:110]
	v_fma_f64 v[113:114], v[115:116], s[10:11], v[103:104]
	v_fma_f64 v[178:179], v[115:116], s[16:17], v[140:141]
	v_fma_f64 v[140:141], v[115:116], s[16:17], -v[140:141]
	v_fma_f64 v[180:181], v[115:116], s[22:23], v[142:143]
	v_fma_f64 v[142:143], v[115:116], s[22:23], -v[142:143]
	v_fma_f64 v[182:183], v[115:116], s[34:35], v[144:145]
	v_add_f64 v[101:102], v[101:102], v[16:17]
	v_add_f64 v[162:163], v[38:39], v[162:163]
	;; [unrolled: 1-line block ×6, first 2 shown]
	v_mul_f64 v[160:161], v[99:100], s[50:51]
	v_fma_f64 v[103:104], v[115:116], s[10:11], -v[103:104]
	v_add_f64 v[101:102], v[101:102], v[18:19]
	v_fma_f64 v[144:145], v[115:116], s[34:35], -v[144:145]
	v_fma_f64 v[184:185], v[115:116], s[28:29], v[146:147]
	v_fma_f64 v[146:147], v[115:116], s[28:29], -v[146:147]
	v_fma_f64 v[186:187], v[115:116], s[18:19], v[148:149]
	v_fma_f64 v[148:149], v[115:116], s[18:19], -v[148:149]
	v_fma_f64 v[188:189], v[115:116], s[4:5], v[150:151]
	v_fma_f64 v[150:151], v[115:116], s[4:5], -v[150:151]
	v_add_f64 v[101:102], v[101:102], v[28:29]
	v_fma_f64 v[190:191], v[115:116], s[6:7], v[105:106]
	v_fma_f64 v[105:106], v[115:116], s[6:7], -v[105:106]
	v_fma_f64 v[115:116], v[111:112], s[4:5], v[152:153]
	v_fma_f64 v[192:193], v[111:112], s[22:23], v[154:155]
	v_fma_f64 v[154:155], v[111:112], s[22:23], -v[154:155]
	v_fma_f64 v[194:195], v[111:112], s[34:35], v[156:157]
	v_fma_f64 v[156:157], v[111:112], s[34:35], -v[156:157]
	v_add_f64 v[101:102], v[101:102], v[54:55]
	v_fma_f64 v[196:197], v[111:112], s[18:19], v[158:159]
	v_add_f64 v[107:108], v[38:39], v[107:108]
	v_add_f64 v[164:165], v[38:39], v[164:165]
	;; [unrolled: 1-line block ×24, first 2 shown]
	v_mul_f64 v[115:116], v[99:100], s[26:27]
	v_fma_f64 v[119:120], v[111:112], s[10:11], -v[160:161]
	v_fma_f64 v[152:153], v[111:112], s[4:5], -v[152:153]
	v_add_f64 v[103:104], v[103:104], v[107:108]
	v_add_f64 v[142:143], v[186:187], v[172:173]
	;; [unrolled: 1-line block ×5, first 2 shown]
	v_mul_f64 v[80:81], v[99:100], s[30:31]
	v_add_f64 v[119:120], v[119:120], v[134:135]
	v_add_f64 v[74:75], v[74:75], v[78:79]
	v_mul_f64 v[78:79], v[76:77], s[36:37]
	v_fma_f64 v[158:159], v[111:112], s[18:19], -v[158:159]
	v_fma_f64 v[198:199], v[111:112], s[10:11], v[160:161]
	v_add_f64 v[82:83], v[95:96], v[82:83]
	v_add_f64 v[95:96], v[156:157], v[130:131]
	;; [unrolled: 1-line block ×3, first 2 shown]
	v_mul_f64 v[140:141], v[99:100], s[36:37]
	v_fma_f64 v[99:100], v[111:112], s[6:7], v[115:116]
	v_fma_f64 v[115:116], v[111:112], s[6:7], -v[115:116]
	v_add_f64 v[107:108], v[178:179], v[164:165]
	v_add_f64 v[101:102], v[144:145], v[132:133]
	;; [unrolled: 1-line block ×4, first 2 shown]
	v_fma_f64 v[146:147], v[111:112], s[28:29], v[80:81]
	v_fma_f64 v[134:135], v[111:112], s[16:17], v[140:141]
	v_fma_f64 v[140:141], v[111:112], s[16:17], -v[140:141]
	v_add_f64 v[99:100], v[99:100], v[142:143]
	v_fma_f64 v[80:81], v[111:112], s[28:29], -v[80:81]
	v_add_f64 v[111:112], v[115:116], v[136:137]
	v_mul_f64 v[115:116], v[76:77], s[38:39]
	v_mul_f64 v[142:143], v[76:77], s[48:49]
	v_add_f64 v[132:133], v[184:185], v[170:171]
	v_add_f64 v[107:108], v[192:193], v[107:108]
	;; [unrolled: 1-line block ×3, first 2 shown]
	v_fma_f64 v[138:139], v[74:75], s[16:17], v[78:79]
	v_mul_f64 v[140:141], v[76:77], s[46:47]
	v_fma_f64 v[78:79], v[74:75], s[16:17], -v[78:79]
	v_add_f64 v[134:135], v[134:135], v[144:145]
	v_add_f64 v[38:39], v[80:81], v[38:39]
	v_fma_f64 v[80:81], v[74:75], s[34:35], v[115:116]
	v_fma_f64 v[115:116], v[74:75], s[34:35], -v[115:116]
	v_add_f64 v[101:102], v[158:159], v[101:102]
	v_add_f64 v[105:106], v[138:139], v[105:106]
	v_mul_f64 v[138:139], v[76:77], s[42:43]
	v_fma_f64 v[144:145], v[74:75], s[18:19], v[140:141]
	v_fma_f64 v[140:141], v[74:75], s[18:19], -v[140:141]
	v_add_f64 v[78:79], v[78:79], v[103:104]
	v_fma_f64 v[103:104], v[74:75], s[6:7], v[142:143]
	v_add_f64 v[132:133], v[198:199], v[132:133]
	v_add_f64 v[80:81], v[80:81], v[107:108]
	;; [unrolled: 1-line block ×3, first 2 shown]
	v_fma_f64 v[109:110], v[74:75], s[6:7], -v[142:143]
	v_fma_f64 v[115:116], v[74:75], s[4:5], v[138:139]
	v_add_f64 v[95:96], v[140:141], v[95:96]
	v_mul_f64 v[140:141], v[76:77], s[30:31]
	v_fma_f64 v[138:139], v[74:75], s[4:5], -v[138:139]
	v_add_f64 v[103:104], v[103:104], v[130:131]
	v_mul_f64 v[130:131], v[76:77], s[56:57]
	v_add_f64 v[68:69], v[68:69], -v[72:73]
	v_add_f64 v[101:102], v[109:110], v[101:102]
	v_add_f64 v[109:110], v[115:116], v[132:133]
	v_mul_f64 v[72:73], v[76:77], s[50:51]
	v_fma_f64 v[76:77], v[74:75], s[28:29], v[140:141]
	v_add_f64 v[115:116], v[138:139], v[119:120]
	v_fma_f64 v[119:120], v[74:75], s[28:29], -v[140:141]
	v_fma_f64 v[132:133], v[74:75], s[22:23], v[130:131]
	v_fma_f64 v[130:131], v[74:75], s[22:23], -v[130:131]
	v_add_f64 v[66:67], v[66:67], v[70:71]
	v_mul_f64 v[70:71], v[68:69], s[20:21]
	v_fma_f64 v[138:139], v[74:75], s[10:11], v[72:73]
	v_add_f64 v[76:77], v[76:77], v[99:100]
	v_fma_f64 v[72:73], v[74:75], s[10:11], -v[72:73]
	v_add_f64 v[74:75], v[119:120], v[111:112]
	v_mul_f64 v[99:100], v[68:69], s[52:53]
	v_add_f64 v[111:112], v[132:133], v[134:135]
	v_add_f64 v[119:120], v[130:131], v[136:137]
	v_fma_f64 v[130:131], v[66:67], s[18:19], v[70:71]
	v_mul_f64 v[132:133], v[68:69], s[50:51]
	v_fma_f64 v[70:71], v[66:67], s[18:19], -v[70:71]
	v_mul_f64 v[134:135], v[68:69], s[42:43]
	v_add_f64 v[38:39], v[72:73], v[38:39]
	v_fma_f64 v[72:73], v[66:67], s[28:29], v[99:100]
	v_fma_f64 v[99:100], v[66:67], s[28:29], -v[99:100]
	v_add_f64 v[48:49], v[48:49], -v[56:57]
	v_add_f64 v[105:106], v[130:131], v[105:106]
	v_mul_f64 v[130:131], v[68:69], s[38:39]
	v_fma_f64 v[136:137], v[66:67], s[10:11], v[132:133]
	v_fma_f64 v[132:133], v[66:67], s[10:11], -v[132:133]
	v_add_f64 v[70:71], v[70:71], v[78:79]
	v_fma_f64 v[78:79], v[66:67], s[4:5], v[134:135]
	v_add_f64 v[72:73], v[72:73], v[80:81]
	v_add_f64 v[80:81], v[99:100], v[107:108]
	v_fma_f64 v[99:100], v[66:67], s[4:5], -v[134:135]
	v_fma_f64 v[107:108], v[66:67], s[34:35], v[130:131]
	v_fma_f64 v[130:131], v[66:67], s[34:35], -v[130:131]
	v_add_f64 v[95:96], v[132:133], v[95:96]
	v_mul_f64 v[132:133], v[68:69], s[54:55]
	v_add_f64 v[78:79], v[78:79], v[103:104]
	v_mul_f64 v[103:104], v[68:69], s[26:27]
	v_mul_f64 v[56:57], v[68:69], s[24:25]
	v_add_f64 v[99:100], v[99:100], v[101:102]
	v_add_f64 v[101:102], v[107:108], v[109:110]
	;; [unrolled: 1-line block ×4, first 2 shown]
	v_fma_f64 v[68:69], v[66:67], s[16:17], v[132:133]
	v_fma_f64 v[109:110], v[66:67], s[16:17], -v[132:133]
	v_fma_f64 v[115:116], v[66:67], s[6:7], v[103:104]
	v_mul_f64 v[54:55], v[48:49], s[24:25]
	v_fma_f64 v[130:131], v[66:67], s[22:23], v[56:57]
	v_fma_f64 v[56:57], v[66:67], s[22:23], -v[56:57]
	v_fma_f64 v[103:104], v[66:67], s[6:7], -v[103:104]
	v_add_f64 v[26:27], v[26:27], -v[30:31]
	v_add_f64 v[68:69], v[68:69], v[76:77]
	v_add_f64 v[66:67], v[109:110], v[74:75]
	;; [unrolled: 1-line block ×3, first 2 shown]
	v_mul_f64 v[76:77], v[48:49], s[46:47]
	v_fma_f64 v[109:110], v[46:47], s[22:23], v[54:55]
	v_mul_f64 v[111:112], v[48:49], s[26:27]
	v_add_f64 v[38:39], v[56:57], v[38:39]
	v_fma_f64 v[54:55], v[46:47], s[22:23], -v[54:55]
	v_mul_f64 v[56:57], v[48:49], s[30:31]
	v_add_f64 v[103:104], v[103:104], v[119:120]
	v_mul_f64 v[30:31], v[48:49], s[44:45]
	v_fma_f64 v[115:116], v[46:47], s[18:19], v[76:77]
	v_fma_f64 v[76:77], v[46:47], s[18:19], -v[76:77]
	v_add_f64 v[105:106], v[109:110], v[105:106]
	v_mul_f64 v[109:110], v[48:49], s[54:55]
	v_fma_f64 v[119:120], v[46:47], s[6:7], v[111:112]
	v_fma_f64 v[111:112], v[46:47], s[6:7], -v[111:112]
	v_add_f64 v[54:55], v[54:55], v[70:71]
	v_fma_f64 v[70:71], v[46:47], s[28:29], v[56:57]
	v_fma_f64 v[56:57], v[46:47], s[28:29], -v[56:57]
	v_add_f64 v[76:77], v[76:77], v[80:81]
	v_add_f64 v[113:114], v[144:145], v[113:114]
	v_fma_f64 v[80:81], v[46:47], s[16:17], v[109:110]
	v_add_f64 v[24:25], v[24:25], v[28:29]
	v_add_f64 v[95:96], v[111:112], v[95:96]
	v_mul_f64 v[111:112], v[48:49], s[40:41]
	v_add_f64 v[70:71], v[70:71], v[78:79]
	v_fma_f64 v[78:79], v[46:47], s[16:17], -v[109:110]
	v_mul_f64 v[109:110], v[48:49], s[38:39]
	v_add_f64 v[56:57], v[56:57], v[99:100]
	v_add_f64 v[80:81], v[80:81], v[101:102]
	v_mul_f64 v[28:29], v[26:27], s[30:31]
	v_add_f64 v[97:98], v[190:191], v[176:177]
	v_fma_f64 v[48:49], v[46:47], s[10:11], v[111:112]
	v_fma_f64 v[99:100], v[46:47], s[10:11], -v[111:112]
	v_add_f64 v[78:79], v[78:79], v[107:108]
	v_fma_f64 v[101:102], v[46:47], s[34:35], v[109:110]
	v_fma_f64 v[107:108], v[46:47], s[34:35], -v[109:110]
	v_fma_f64 v[109:110], v[46:47], s[4:5], v[30:31]
	v_fma_f64 v[30:31], v[46:47], s[4:5], -v[30:31]
	v_add_f64 v[113:114], v[136:137], v[113:114]
	v_add_f64 v[48:49], v[48:49], v[68:69]
	v_mul_f64 v[68:69], v[26:27], s[44:45]
	v_add_f64 v[66:67], v[99:100], v[66:67]
	v_add_f64 v[46:47], v[101:102], v[74:75]
	v_mul_f64 v[101:102], v[26:27], s[36:37]
	v_fma_f64 v[99:100], v[24:25], s[28:29], v[28:29]
	v_fma_f64 v[28:29], v[24:25], s[28:29], -v[28:29]
	v_add_f64 v[30:31], v[30:31], v[38:39]
	v_mul_f64 v[38:39], v[26:27], s[56:57]
	v_add_f64 v[97:98], v[146:147], v[97:98]
	v_add_f64 v[72:73], v[115:116], v[72:73]
	;; [unrolled: 1-line block ×4, first 2 shown]
	v_fma_f64 v[103:104], v[24:25], s[4:5], v[68:69]
	v_fma_f64 v[107:108], v[24:25], s[16:17], v[101:102]
	v_fma_f64 v[68:69], v[24:25], s[4:5], -v[68:69]
	v_add_f64 v[99:100], v[99:100], v[105:106]
	v_mul_f64 v[105:106], v[26:27], s[26:27]
	v_add_f64 v[28:29], v[28:29], v[54:55]
	v_fma_f64 v[54:55], v[24:25], s[16:17], -v[101:102]
	v_fma_f64 v[101:102], v[24:25], s[22:23], v[38:39]
	v_add_f64 v[97:98], v[138:139], v[97:98]
	v_add_f64 v[72:73], v[103:104], v[72:73]
	v_fma_f64 v[38:39], v[24:25], s[22:23], -v[38:39]
	v_add_f64 v[103:104], v[107:108], v[113:114]
	v_mul_f64 v[107:108], v[26:27], s[38:39]
	v_add_f64 v[68:69], v[68:69], v[76:77]
	v_fma_f64 v[76:77], v[24:25], s[6:7], v[105:106]
	v_add_f64 v[70:71], v[101:102], v[70:71]
	v_mul_f64 v[101:102], v[26:27], s[50:51]
	v_add_f64 v[20:21], v[20:21], -v[22:23]
	v_add_f64 v[97:98], v[130:131], v[97:98]
	v_add_f64 v[54:55], v[54:55], v[95:96]
	v_fma_f64 v[95:96], v[24:25], s[6:7], -v[105:106]
	v_add_f64 v[56:57], v[38:39], v[56:57]
	v_fma_f64 v[22:23], v[24:25], s[34:35], v[107:108]
	v_fma_f64 v[38:39], v[24:25], s[34:35], -v[107:108]
	v_mul_f64 v[26:27], v[26:27], s[20:21]
	v_add_f64 v[76:77], v[76:77], v[80:81]
	v_fma_f64 v[80:81], v[24:25], s[10:11], v[101:102]
	v_add_f64 v[16:17], v[16:17], v[18:19]
	v_mul_f64 v[18:19], v[20:21], s[38:39]
	v_add_f64 v[97:98], v[109:110], v[97:98]
	v_add_f64 v[78:79], v[95:96], v[78:79]
	v_fma_f64 v[95:96], v[24:25], s[10:11], -v[101:102]
	v_add_f64 v[22:23], v[22:23], v[48:49]
	v_add_f64 v[48:49], v[38:39], v[66:67]
	v_fma_f64 v[38:39], v[24:25], s[18:19], v[26:27]
	v_mul_f64 v[66:67], v[20:21], s[48:49]
	v_add_f64 v[46:47], v[80:81], v[46:47]
	v_fma_f64 v[24:25], v[24:25], s[18:19], -v[26:27]
	v_fma_f64 v[26:27], v[16:17], s[34:35], v[18:19]
	v_mul_f64 v[80:81], v[20:21], s[30:31]
	v_fma_f64 v[18:19], v[16:17], s[34:35], -v[18:19]
	v_add_f64 v[74:75], v[95:96], v[74:75]
	v_add_f64 v[95:96], v[38:39], v[97:98]
	v_fma_f64 v[97:98], v[16:17], s[6:7], v[66:67]
	v_mul_f64 v[101:102], v[20:21], s[50:51]
	v_fma_f64 v[66:67], v[16:17], s[6:7], -v[66:67]
	v_add_f64 v[24:25], v[24:25], v[30:31]
	v_fma_f64 v[30:31], v[16:17], s[28:29], v[80:81]
	v_add_f64 v[38:39], v[18:19], v[28:29]
	v_fma_f64 v[18:19], v[16:17], s[28:29], -v[80:81]
	v_mul_f64 v[80:81], v[20:21], s[24:25]
	v_add_f64 v[28:29], v[97:98], v[72:73]
	v_fma_f64 v[72:73], v[16:17], s[10:11], v[101:102]
	v_add_f64 v[66:67], v[66:67], v[68:69]
	v_fma_f64 v[68:69], v[16:17], s[10:11], -v[101:102]
	v_mul_f64 v[97:98], v[20:21], s[44:45]
	v_add_f64 v[26:27], v[26:27], v[99:100]
	v_add_f64 v[18:19], v[18:19], v[54:55]
	v_mul_f64 v[54:55], v[20:21], s[20:21]
	v_mul_f64 v[20:21], v[20:21], s[54:55]
	v_add_f64 v[70:71], v[72:73], v[70:71]
	v_fma_f64 v[72:73], v[16:17], s[22:23], -v[80:81]
	v_add_f64 v[56:57], v[68:69], v[56:57]
	v_fma_f64 v[68:69], v[16:17], s[22:23], v[80:81]
	v_fma_f64 v[80:81], v[16:17], s[4:5], v[97:98]
	v_fma_f64 v[97:98], v[16:17], s[4:5], -v[97:98]
	v_fma_f64 v[99:100], v[16:17], s[18:19], v[54:55]
	v_fma_f64 v[54:55], v[16:17], s[18:19], -v[54:55]
	;; [unrolled: 2-line block ×3, first 2 shown]
	v_add_f64 v[30:31], v[30:31], v[103:104]
	v_add_f64 v[20:21], v[68:69], v[76:77]
	;; [unrolled: 1-line block ×9, first 2 shown]
	s_waitcnt lgkmcnt(0)
	s_barrier
	ds_write2_b64 v35, v[82:83], v[26:27] offset1:34
	ds_write2_b64 v35, v[28:29], v[30:31] offset0:68 offset1:102
	ds_write2_b64 v35, v[70:71], v[20:21] offset0:136 offset1:170
	;; [unrolled: 1-line block ×7, first 2 shown]
	ds_write_b64 v35, v[38:39] offset:4352
	v_add_u32_e32 v16, 0x1000, v121
	v_add_u32_e32 v20, 0x1400, v121
	;; [unrolled: 1-line block ×4, first 2 shown]
	s_waitcnt lgkmcnt(0)
	s_barrier
	ds_read2_b64 v[16:19], v16 offset0:66 offset1:134
	ds_read2_b64 v[20:23], v20 offset0:74 offset1:142
	ds_read_b64 v[46:47], v122
	ds_read_b64 v[48:49], v124
	;; [unrolled: 1-line block ×4, first 2 shown]
	ds_read2_b64 v[24:27], v24 offset0:82 offset1:150
	ds_read2_b64 v[28:31], v28 offset0:90 offset1:158
	ds_read_b64 v[66:67], v123
	ds_read_b64 v[68:69], v126
	ds_read_b64 v[70:71], v127
	ds_read_b64 v[72:73], v129
	s_and_saveexec_b64 s[2:3], s[0:1]
	s_cbranch_execz .LBB0_24
; %bb.23:
	ds_read_b64 v[38:39], v117
	ds_read_b64 v[32:33], v121 offset:8976
	v_mov_b32_e32 v34, v86
.LBB0_24:
	s_or_b64 exec, exec, s[2:3]
	s_and_saveexec_b64 s[2:3], vcc
	s_cbranch_execz .LBB0_27
; %bb.25:
	v_mov_b32_e32 v86, 0
	v_lshlrev_b64 v[74:75], 4, v[85:86]
	v_mov_b32_e32 v35, s9
	v_add_co_u32_e32 v74, vcc, s8, v74
	v_addc_co_u32_e32 v75, vcc, v35, v75, vcc
	v_add_co_u32_e32 v82, vcc, 0x2000, v74
	v_mov_b32_e32 v95, v86
	v_addc_co_u32_e32 v83, vcc, 0, v75, vcc
	v_lshlrev_b64 v[74:75], 4, v[94:95]
	s_movk_i32 s2, 0x2000
	v_add_co_u32_e32 v74, vcc, s8, v74
	v_addc_co_u32_e32 v75, vcc, v35, v75, vcc
	v_add_co_u32_e32 v94, vcc, s2, v74
	v_addc_co_u32_e32 v95, vcc, 0, v75, vcc
	global_load_dwordx4 v[74:77], v[82:83], off offset:784
	global_load_dwordx4 v[78:81], v[94:95], off offset:784
	v_mov_b32_e32 v94, v86
	v_lshlrev_b64 v[82:83], 4, v[93:94]
	v_mov_b32_e32 v93, v86
	v_add_co_u32_e32 v82, vcc, s8, v82
	v_addc_co_u32_e32 v83, vcc, v35, v83, vcc
	v_add_co_u32_e32 v82, vcc, s2, v82
	v_lshlrev_b64 v[92:93], 4, v[92:93]
	v_addc_co_u32_e32 v83, vcc, 0, v83, vcc
	v_add_co_u32_e32 v85, vcc, s8, v92
	v_addc_co_u32_e32 v92, vcc, v35, v93, vcc
	v_add_co_u32_e32 v101, vcc, s2, v85
	v_addc_co_u32_e32 v102, vcc, 0, v92, vcc
	global_load_dwordx4 v[93:96], v[82:83], off offset:784
	global_load_dwordx4 v[97:100], v[101:102], off offset:784
	v_mov_b32_e32 v92, v86
	v_lshlrev_b64 v[82:83], 4, v[91:92]
	v_mov_b32_e32 v91, v86
	v_add_co_u32_e32 v82, vcc, s8, v82
	v_addc_co_u32_e32 v83, vcc, v35, v83, vcc
	v_add_co_u32_e32 v82, vcc, s2, v82
	v_lshlrev_b64 v[90:91], 4, v[90:91]
	v_addc_co_u32_e32 v83, vcc, 0, v83, vcc
	v_add_co_u32_e32 v85, vcc, s8, v90
	v_addc_co_u32_e32 v91, vcc, v35, v91, vcc
	v_add_co_u32_e32 v90, vcc, s2, v85
	v_addc_co_u32_e32 v91, vcc, 0, v91, vcc
	global_load_dwordx4 v[101:104], v[82:83], off offset:784
	global_load_dwordx4 v[105:108], v[90:91], off offset:784
	v_mov_b32_e32 v90, v86
	v_lshlrev_b64 v[82:83], 4, v[89:90]
	v_mov_b32_e32 v85, v86
	v_add_co_u32_e32 v82, vcc, s8, v82
	v_addc_co_u32_e32 v83, vcc, v35, v83, vcc
	v_add_co_u32_e32 v82, vcc, s2, v82
	v_addc_co_u32_e32 v83, vcc, 0, v83, vcc
	global_load_dwordx4 v[89:92], v[82:83], off offset:784
	v_lshlrev_b64 v[82:83], 4, v[84:85]
	v_add_co_u32_e32 v82, vcc, s8, v82
	v_addc_co_u32_e32 v35, vcc, v35, v83, vcc
	v_add_co_u32_e32 v82, vcc, s2, v82
	v_addc_co_u32_e32 v83, vcc, 0, v35, vcc
	global_load_dwordx4 v[109:112], v[82:83], off offset:784
	v_add_u32_e32 v35, 0x242, v84
	s_waitcnt vmcnt(7)
	v_mul_f64 v[82:83], v[14:15], v[76:77]
	s_waitcnt lgkmcnt(4)
	v_mul_f64 v[76:77], v[30:31], v[76:77]
	s_waitcnt vmcnt(6)
	v_mul_f64 v[113:114], v[12:13], v[80:81]
	v_fma_f64 v[30:31], v[30:31], v[74:75], v[82:83]
	v_fma_f64 v[14:15], v[14:15], v[74:75], -v[76:77]
	v_mul_f64 v[74:75], v[28:29], v[80:81]
	v_fma_f64 v[80:81], v[28:29], v[78:79], v[113:114]
	s_waitcnt lgkmcnt(0)
	v_add_f64 v[30:31], v[72:73], -v[30:31]
	v_add_f64 v[28:29], v[64:65], -v[14:15]
	v_fma_f64 v[74:75], v[12:13], v[78:79], -v[74:75]
	v_add_f64 v[12:13], v[70:71], -v[80:81]
	s_waitcnt vmcnt(5)
	v_mul_f64 v[76:77], v[10:11], v[95:96]
	v_mul_f64 v[82:83], v[26:27], v[95:96]
	s_waitcnt vmcnt(4)
	v_mul_f64 v[95:96], v[8:9], v[99:100]
	v_mul_f64 v[14:15], v[24:25], v[99:100]
	v_fma_f64 v[76:77], v[26:27], v[93:94], v[76:77]
	v_fma_f64 v[78:79], v[10:11], v[93:94], -v[82:83]
	v_fma_f64 v[80:81], v[24:25], v[97:98], v[95:96]
	v_fma_f64 v[26:27], v[72:73], 2.0, -v[30:31]
	v_fma_f64 v[24:25], v[64:65], 2.0, -v[28:29]
	v_fma_f64 v[8:9], v[8:9], v[97:98], -v[14:15]
	v_fma_f64 v[64:65], v[70:71], 2.0, -v[12:13]
	v_add_f64 v[10:11], v[62:63], -v[74:75]
	v_add_f64 v[72:73], v[68:69], -v[76:77]
	;; [unrolled: 1-line block ×4, first 2 shown]
	s_waitcnt vmcnt(3)
	v_mul_f64 v[82:83], v[22:23], v[103:104]
	v_mul_f64 v[14:15], v[6:7], v[103:104]
	v_add_f64 v[74:75], v[58:59], -v[8:9]
	v_fma_f64 v[80:81], v[68:69], 2.0, -v[72:73]
	s_waitcnt vmcnt(2)
	v_mul_f64 v[68:69], v[4:5], v[107:108]
	v_fma_f64 v[78:79], v[60:61], 2.0, -v[70:71]
	v_fma_f64 v[8:9], v[66:67], 2.0, -v[76:77]
	;; [unrolled: 1-line block ×3, first 2 shown]
	v_fma_f64 v[60:61], v[6:7], v[101:102], -v[82:83]
	v_fma_f64 v[14:15], v[22:23], v[101:102], v[14:15]
	v_fma_f64 v[6:7], v[58:59], 2.0, -v[74:75]
	v_mul_f64 v[58:59], v[20:21], v[107:108]
	v_fma_f64 v[68:69], v[20:21], v[105:106], v[68:69]
	s_waitcnt vmcnt(1)
	v_mul_f64 v[66:67], v[2:3], v[91:92]
	v_mul_f64 v[82:83], v[18:19], v[91:92]
	v_add_f64 v[20:21], v[50:51], -v[60:61]
	v_add_f64 v[22:23], v[56:57], -v[14:15]
	v_fma_f64 v[58:59], v[4:5], v[105:106], -v[58:59]
	v_add_f64 v[4:5], v[54:55], -v[68:69]
	v_fma_f64 v[18:19], v[18:19], v[89:90], v[66:67]
	v_fma_f64 v[66:67], v[2:3], v[89:90], -v[82:83]
	s_waitcnt vmcnt(0)
	v_mul_f64 v[91:92], v[0:1], v[111:112]
	v_mul_f64 v[60:61], v[16:17], v[111:112]
	v_fma_f64 v[14:15], v[50:51], 2.0, -v[20:21]
	v_add_f64 v[2:3], v[44:45], -v[58:59]
	v_fma_f64 v[68:69], v[16:17], v[109:110], v[91:92]
	v_fma_f64 v[0:1], v[0:1], v[109:110], -v[60:61]
	v_fma_f64 v[16:17], v[56:57], 2.0, -v[22:23]
	v_add_f64 v[56:57], v[48:49], -v[18:19]
	v_fma_f64 v[60:61], v[54:55], 2.0, -v[4:5]
	v_add_f64 v[54:55], v[42:43], -v[66:67]
	v_mad_u64_u32 v[18:19], s[2:3], s12, v84, 0
	v_add_f64 v[68:69], v[46:47], -v[68:69]
	v_add_f64 v[66:67], v[40:41], -v[0:1]
	v_mov_b32_e32 v0, v19
	v_mad_u64_u32 v[0:1], s[2:3], s13, v84, v[0:1]
	v_fma_f64 v[58:59], v[44:45], 2.0, -v[2:3]
	v_fma_f64 v[44:45], v[48:49], 2.0, -v[56:57]
	v_mov_b32_e32 v19, v0
	v_fma_f64 v[48:49], v[46:47], 2.0, -v[68:69]
	v_fma_f64 v[46:47], v[40:41], 2.0, -v[66:67]
	v_mov_b32_e32 v1, s15
	v_add_co_u32_e32 v0, vcc, s14, v87
	v_lshlrev_b64 v[18:19], 4, v[18:19]
	v_mad_u64_u32 v[40:41], s[2:3], s12, v35, 0
	v_addc_co_u32_e32 v1, vcc, v1, v88, vcc
	v_add_co_u32_e32 v18, vcc, v0, v18
	v_addc_co_u32_e32 v19, vcc, v1, v19, vcc
	global_store_dwordx4 v[18:19], v[46:49], off
	v_mov_b32_e32 v18, v41
	v_add_u32_e32 v48, 0x44, v84
	v_mad_u64_u32 v[18:19], s[2:3], s13, v35, v[18:19]
	v_mad_u64_u32 v[46:47], s[2:3], s12, v48, 0
	v_mov_b32_e32 v41, v18
	v_lshlrev_b64 v[18:19], 4, v[40:41]
	v_mov_b32_e32 v35, v47
	v_mad_u64_u32 v[40:41], s[4:5], s13, v48, v[35:36]
	v_add_co_u32_e32 v18, vcc, v0, v18
	v_addc_co_u32_e32 v19, vcc, v1, v19, vcc
	v_mov_b32_e32 v47, v40
	global_store_dwordx4 v[18:19], v[66:69], off
	v_lshlrev_b64 v[18:19], 4, v[46:47]
	v_add_u32_e32 v46, 0x286, v84
	v_mad_u64_u32 v[40:41], s[4:5], s12, v46, 0
	v_fma_f64 v[42:43], v[42:43], 2.0, -v[54:55]
	v_add_u32_e32 v49, 0x88, v84
	v_mov_b32_e32 v35, v41
	v_mad_u64_u32 v[46:47], s[4:5], s13, v46, v[35:36]
	v_mad_u64_u32 v[47:48], s[4:5], s12, v49, 0
	v_add_co_u32_e32 v18, vcc, v0, v18
	v_addc_co_u32_e32 v19, vcc, v1, v19, vcc
	v_mov_b32_e32 v41, v46
	v_mov_b32_e32 v35, v48
	global_store_dwordx4 v[18:19], v[42:45], off
	v_lshlrev_b64 v[18:19], 4, v[40:41]
	v_mad_u64_u32 v[40:41], s[4:5], s13, v49, v[35:36]
	v_add_u32_e32 v42, 0x2ca, v84
	v_add_co_u32_e32 v18, vcc, v0, v18
	v_mov_b32_e32 v48, v40
	v_mad_u64_u32 v[40:41], s[4:5], s12, v42, 0
	v_addc_co_u32_e32 v19, vcc, v1, v19, vcc
	v_mov_b32_e32 v35, v41
	global_store_dwordx4 v[18:19], v[54:57], off
	v_lshlrev_b64 v[18:19], 4, v[47:48]
	v_mad_u64_u32 v[41:42], s[4:5], s13, v42, v[35:36]
	v_add_co_u32_e32 v18, vcc, v0, v18
	v_addc_co_u32_e32 v19, vcc, v1, v19, vcc
	v_add_u32_e32 v44, 0xcc, v84
	global_store_dwordx4 v[18:19], v[58:61], off
	v_lshlrev_b64 v[18:19], 4, v[40:41]
	v_mad_u64_u32 v[42:43], s[4:5], s12, v44, 0
	v_add_co_u32_e32 v18, vcc, v0, v18
	v_addc_co_u32_e32 v19, vcc, v1, v19, vcc
	global_store_dwordx4 v[18:19], v[2:5], off
	v_add_u32_e32 v18, 0x30e, v84
	v_mov_b32_e32 v35, v43
	v_mad_u64_u32 v[4:5], s[4:5], s12, v18, 0
	v_mad_u64_u32 v[40:41], s[4:5], s13, v44, v[35:36]
	;; [unrolled: 1-line block ×3, first 2 shown]
	v_mov_b32_e32 v43, v40
	v_add_u32_e32 v19, 0x110, v84
	v_lshlrev_b64 v[2:3], 4, v[42:43]
	v_mad_u64_u32 v[40:41], s[4:5], s12, v19, 0
	v_add_co_u32_e32 v2, vcc, v0, v2
	v_addc_co_u32_e32 v3, vcc, v1, v3, vcc
	v_mov_b32_e32 v5, v18
	global_store_dwordx4 v[2:3], v[14:17], off
	v_lshlrev_b64 v[2:3], 4, v[4:5]
	v_mov_b32_e32 v4, v41
	v_mad_u64_u32 v[4:5], s[4:5], s13, v19, v[4:5]
	v_add_u32_e32 v14, 0x352, v84
	v_add_co_u32_e32 v2, vcc, v0, v2
	v_mov_b32_e32 v41, v4
	v_mad_u64_u32 v[4:5], s[4:5], s12, v14, 0
	v_addc_co_u32_e32 v3, vcc, v1, v3, vcc
	v_mad_u64_u32 v[14:15], s[4:5], s13, v14, v[5:6]
	v_add_u32_e32 v17, 0x154, v84
	global_store_dwordx4 v[2:3], v[20:23], off
	v_lshlrev_b64 v[2:3], 4, v[40:41]
	v_mad_u64_u32 v[15:16], s[4:5], s12, v17, 0
	v_add_co_u32_e32 v2, vcc, v0, v2
	v_addc_co_u32_e32 v3, vcc, v1, v3, vcc
	v_mov_b32_e32 v5, v14
	global_store_dwordx4 v[2:3], v[6:9], off
	v_lshlrev_b64 v[2:3], 4, v[4:5]
	v_mov_b32_e32 v4, v16
	v_mad_u64_u32 v[4:5], s[4:5], s13, v17, v[4:5]
	v_add_u32_e32 v6, 0x396, v84
	v_add_u32_e32 v7, 0x198, v84
	v_mov_b32_e32 v16, v4
	v_mad_u64_u32 v[4:5], s[4:5], s12, v6, 0
	s_mov_b32 s3, 0xe2c4a689
	v_mul_hi_u32 v8, v7, s3
	v_mad_u64_u32 v[5:6], s[4:5], s13, v6, v[5:6]
	s_movk_i32 s2, 0x242
	v_add_co_u32_e32 v2, vcc, v0, v2
	v_lshrrev_b32_e32 v6, 9, v8
	v_addc_co_u32_e32 v3, vcc, v1, v3, vcc
	v_mad_u32_u24 v8, v6, s2, v7
	global_store_dwordx4 v[2:3], v[74:77], off
	v_lshlrev_b64 v[2:3], 4, v[15:16]
	v_mad_u64_u32 v[6:7], s[4:5], s12, v8, 0
	v_add_co_u32_e32 v2, vcc, v0, v2
	v_addc_co_u32_e32 v3, vcc, v1, v3, vcc
	global_store_dwordx4 v[2:3], v[78:81], off
	v_lshlrev_b64 v[2:3], 4, v[4:5]
	v_mov_b32_e32 v4, v7
	v_mad_u64_u32 v[4:5], s[4:5], s13, v8, v[4:5]
	v_add_co_u32_e32 v2, vcc, v0, v2
	v_addc_co_u32_e32 v3, vcc, v1, v3, vcc
	v_mov_b32_e32 v7, v4
	global_store_dwordx4 v[2:3], v[70:73], off
	v_lshlrev_b64 v[2:3], 4, v[6:7]
	v_add_u32_e32 v6, 0x242, v8
	v_mad_u64_u32 v[4:5], s[4:5], s12, v6, 0
	v_add_co_u32_e32 v2, vcc, v0, v2
	v_mad_u64_u32 v[5:6], s[4:5], s13, v6, v[5:6]
	v_add_u32_e32 v6, 0x1dc, v84
	v_mul_hi_u32 v7, v6, s3
	v_addc_co_u32_e32 v3, vcc, v1, v3, vcc
	global_store_dwordx4 v[2:3], v[62:65], off
	v_lshlrev_b64 v[2:3], 4, v[4:5]
	v_lshrrev_b32_e32 v4, 9, v7
	v_mad_u32_u24 v7, v4, s2, v6
	v_mad_u64_u32 v[4:5], s[2:3], s12, v7, 0
	v_add_u32_e32 v8, 0x242, v7
	v_add_co_u32_e32 v2, vcc, v0, v2
	v_mad_u64_u32 v[5:6], s[2:3], s13, v7, v[5:6]
	v_mad_u64_u32 v[6:7], s[2:3], s12, v8, 0
	v_addc_co_u32_e32 v3, vcc, v1, v3, vcc
	global_store_dwordx4 v[2:3], v[10:13], off
	v_lshlrev_b64 v[2:3], 4, v[4:5]
	v_mov_b32_e32 v4, v7
	v_mad_u64_u32 v[4:5], s[2:3], s13, v8, v[4:5]
	v_add_co_u32_e32 v2, vcc, v0, v2
	v_addc_co_u32_e32 v3, vcc, v1, v3, vcc
	v_mov_b32_e32 v7, v4
	global_store_dwordx4 v[2:3], v[24:27], off
	v_lshlrev_b64 v[2:3], 4, v[6:7]
	v_add_co_u32_e32 v2, vcc, v0, v2
	v_addc_co_u32_e32 v3, vcc, v1, v3, vcc
	global_store_dwordx4 v[2:3], v[28:31], off
	s_and_b64 exec, exec, s[0:1]
	s_cbranch_execz .LBB0_27
; %bb.26:
	v_mov_b32_e32 v35, v86
	v_lshlrev_b64 v[2:3], 4, v[34:35]
	v_mov_b32_e32 v4, s9
	v_add_co_u32_e32 v2, vcc, s8, v2
	v_addc_co_u32_e32 v3, vcc, v4, v3, vcc
	v_add_co_u32_e32 v2, vcc, 0x2000, v2
	v_addc_co_u32_e32 v3, vcc, 0, v3, vcc
	global_load_dwordx4 v[2:5], v[2:3], off offset:784
	v_add_u32_e32 v12, 0x220, v84
	v_add_u32_e32 v13, 0x462, v84
	v_mad_u64_u32 v[8:9], s[0:1], s12, v12, 0
	v_mad_u64_u32 v[10:11], s[0:1], s12, v13, 0
	s_waitcnt vmcnt(0)
	v_mul_f64 v[6:7], v[32:33], v[4:5]
	v_mul_f64 v[4:5], v[52:53], v[4:5]
	v_fma_f64 v[6:7], v[52:53], v[2:3], -v[6:7]
	v_fma_f64 v[4:5], v[32:33], v[2:3], v[4:5]
	v_mov_b32_e32 v2, v9
	v_mov_b32_e32 v3, v11
	v_mad_u64_u32 v[11:12], s[0:1], s13, v12, v[2:3]
	v_mov_b32_e32 v9, v11
	v_mad_u64_u32 v[12:13], s[0:1], s13, v13, v[3:4]
	v_add_f64 v[2:3], v[36:37], -v[6:7]
	v_add_f64 v[4:5], v[38:39], -v[4:5]
	v_mov_b32_e32 v11, v12
	v_lshlrev_b64 v[12:13], 4, v[8:9]
	v_lshlrev_b64 v[10:11], 4, v[10:11]
	v_add_co_u32_e32 v12, vcc, v0, v12
	v_addc_co_u32_e32 v13, vcc, v1, v13, vcc
	v_fma_f64 v[6:7], v[36:37], 2.0, -v[2:3]
	v_fma_f64 v[8:9], v[38:39], 2.0, -v[4:5]
	v_add_co_u32_e32 v0, vcc, v0, v10
	v_addc_co_u32_e32 v1, vcc, v1, v11, vcc
	global_store_dwordx4 v[12:13], v[6:9], off
	global_store_dwordx4 v[0:1], v[2:5], off
.LBB0_27:
	s_endpgm
	.section	.rodata,"a",@progbits
	.p2align	6, 0x0
	.amdhsa_kernel fft_rtc_fwd_len1156_factors_17_2_17_2_wgs_204_tpt_68_halfLds_dp_ip_CI_sbrr_dirReg
		.amdhsa_group_segment_fixed_size 0
		.amdhsa_private_segment_fixed_size 0
		.amdhsa_kernarg_size 88
		.amdhsa_user_sgpr_count 6
		.amdhsa_user_sgpr_private_segment_buffer 1
		.amdhsa_user_sgpr_dispatch_ptr 0
		.amdhsa_user_sgpr_queue_ptr 0
		.amdhsa_user_sgpr_kernarg_segment_ptr 1
		.amdhsa_user_sgpr_dispatch_id 0
		.amdhsa_user_sgpr_flat_scratch_init 0
		.amdhsa_user_sgpr_private_segment_size 0
		.amdhsa_uses_dynamic_stack 0
		.amdhsa_system_sgpr_private_segment_wavefront_offset 0
		.amdhsa_system_sgpr_workgroup_id_x 1
		.amdhsa_system_sgpr_workgroup_id_y 0
		.amdhsa_system_sgpr_workgroup_id_z 0
		.amdhsa_system_sgpr_workgroup_info 0
		.amdhsa_system_vgpr_workitem_id 0
		.amdhsa_next_free_vgpr 248
		.amdhsa_next_free_sgpr 60
		.amdhsa_reserve_vcc 1
		.amdhsa_reserve_flat_scratch 0
		.amdhsa_float_round_mode_32 0
		.amdhsa_float_round_mode_16_64 0
		.amdhsa_float_denorm_mode_32 3
		.amdhsa_float_denorm_mode_16_64 3
		.amdhsa_dx10_clamp 1
		.amdhsa_ieee_mode 1
		.amdhsa_fp16_overflow 0
		.amdhsa_exception_fp_ieee_invalid_op 0
		.amdhsa_exception_fp_denorm_src 0
		.amdhsa_exception_fp_ieee_div_zero 0
		.amdhsa_exception_fp_ieee_overflow 0
		.amdhsa_exception_fp_ieee_underflow 0
		.amdhsa_exception_fp_ieee_inexact 0
		.amdhsa_exception_int_div_zero 0
	.end_amdhsa_kernel
	.text
.Lfunc_end0:
	.size	fft_rtc_fwd_len1156_factors_17_2_17_2_wgs_204_tpt_68_halfLds_dp_ip_CI_sbrr_dirReg, .Lfunc_end0-fft_rtc_fwd_len1156_factors_17_2_17_2_wgs_204_tpt_68_halfLds_dp_ip_CI_sbrr_dirReg
                                        ; -- End function
	.section	.AMDGPU.csdata,"",@progbits
; Kernel info:
; codeLenInByte = 19632
; NumSgprs: 64
; NumVgprs: 248
; ScratchSize: 0
; MemoryBound: 1
; FloatMode: 240
; IeeeMode: 1
; LDSByteSize: 0 bytes/workgroup (compile time only)
; SGPRBlocks: 7
; VGPRBlocks: 61
; NumSGPRsForWavesPerEU: 64
; NumVGPRsForWavesPerEU: 248
; Occupancy: 1
; WaveLimiterHint : 1
; COMPUTE_PGM_RSRC2:SCRATCH_EN: 0
; COMPUTE_PGM_RSRC2:USER_SGPR: 6
; COMPUTE_PGM_RSRC2:TRAP_HANDLER: 0
; COMPUTE_PGM_RSRC2:TGID_X_EN: 1
; COMPUTE_PGM_RSRC2:TGID_Y_EN: 0
; COMPUTE_PGM_RSRC2:TGID_Z_EN: 0
; COMPUTE_PGM_RSRC2:TIDIG_COMP_CNT: 0
	.type	__hip_cuid_45ae9a01db6aecf0,@object ; @__hip_cuid_45ae9a01db6aecf0
	.section	.bss,"aw",@nobits
	.globl	__hip_cuid_45ae9a01db6aecf0
__hip_cuid_45ae9a01db6aecf0:
	.byte	0                               ; 0x0
	.size	__hip_cuid_45ae9a01db6aecf0, 1

	.ident	"AMD clang version 19.0.0git (https://github.com/RadeonOpenCompute/llvm-project roc-6.4.0 25133 c7fe45cf4b819c5991fe208aaa96edf142730f1d)"
	.section	".note.GNU-stack","",@progbits
	.addrsig
	.addrsig_sym __hip_cuid_45ae9a01db6aecf0
	.amdgpu_metadata
---
amdhsa.kernels:
  - .args:
      - .actual_access:  read_only
        .address_space:  global
        .offset:         0
        .size:           8
        .value_kind:     global_buffer
      - .offset:         8
        .size:           8
        .value_kind:     by_value
      - .actual_access:  read_only
        .address_space:  global
        .offset:         16
        .size:           8
        .value_kind:     global_buffer
      - .actual_access:  read_only
        .address_space:  global
        .offset:         24
        .size:           8
        .value_kind:     global_buffer
      - .offset:         32
        .size:           8
        .value_kind:     by_value
      - .actual_access:  read_only
        .address_space:  global
        .offset:         40
        .size:           8
        .value_kind:     global_buffer
      - .actual_access:  read_only
        .address_space:  global
        .offset:         48
        .size:           8
        .value_kind:     global_buffer
      - .offset:         56
        .size:           4
        .value_kind:     by_value
      - .actual_access:  read_only
        .address_space:  global
        .offset:         64
        .size:           8
        .value_kind:     global_buffer
      - .actual_access:  read_only
        .address_space:  global
        .offset:         72
        .size:           8
        .value_kind:     global_buffer
      - .address_space:  global
        .offset:         80
        .size:           8
        .value_kind:     global_buffer
    .group_segment_fixed_size: 0
    .kernarg_segment_align: 8
    .kernarg_segment_size: 88
    .language:       OpenCL C
    .language_version:
      - 2
      - 0
    .max_flat_workgroup_size: 204
    .name:           fft_rtc_fwd_len1156_factors_17_2_17_2_wgs_204_tpt_68_halfLds_dp_ip_CI_sbrr_dirReg
    .private_segment_fixed_size: 0
    .sgpr_count:     64
    .sgpr_spill_count: 0
    .symbol:         fft_rtc_fwd_len1156_factors_17_2_17_2_wgs_204_tpt_68_halfLds_dp_ip_CI_sbrr_dirReg.kd
    .uniform_work_group_size: 1
    .uses_dynamic_stack: false
    .vgpr_count:     248
    .vgpr_spill_count: 0
    .wavefront_size: 64
amdhsa.target:   amdgcn-amd-amdhsa--gfx906
amdhsa.version:
  - 1
  - 2
...

	.end_amdgpu_metadata
